;; amdgpu-corpus repo=ROCm/rocFFT kind=compiled arch=gfx950 opt=O3
	.text
	.amdgcn_target "amdgcn-amd-amdhsa--gfx950"
	.amdhsa_code_object_version 6
	.protected	fft_rtc_back_len1156_factors_17_2_17_2_wgs_204_tpt_68_halfLds_half_ip_CI_unitstride_sbrr_dirReg ; -- Begin function fft_rtc_back_len1156_factors_17_2_17_2_wgs_204_tpt_68_halfLds_half_ip_CI_unitstride_sbrr_dirReg
	.globl	fft_rtc_back_len1156_factors_17_2_17_2_wgs_204_tpt_68_halfLds_half_ip_CI_unitstride_sbrr_dirReg
	.p2align	8
	.type	fft_rtc_back_len1156_factors_17_2_17_2_wgs_204_tpt_68_halfLds_half_ip_CI_unitstride_sbrr_dirReg,@function
fft_rtc_back_len1156_factors_17_2_17_2_wgs_204_tpt_68_halfLds_half_ip_CI_unitstride_sbrr_dirReg: ; @fft_rtc_back_len1156_factors_17_2_17_2_wgs_204_tpt_68_halfLds_half_ip_CI_unitstride_sbrr_dirReg
; %bb.0:
	s_load_dwordx2 s[8:9], s[0:1], 0x50
	s_load_dwordx4 s[4:7], s[0:1], 0x0
	s_load_dwordx2 s[10:11], s[0:1], 0x18
	v_mul_u32_u24_e32 v1, 0x3c4, v0
	v_lshrrev_b32_e32 v2, 16, v1
	v_mad_u64_u32 v[4:5], s[2:3], s2, 3, v[2:3]
	v_mov_b32_e32 v6, 0
	v_mov_b32_e32 v5, v6
	s_waitcnt lgkmcnt(0)
	v_cmp_lt_u64_e64 s[2:3], s[6:7], 2
	s_and_b64 vcc, exec, s[2:3]
	v_mov_b64_e32 v[2:3], 0
	v_mov_b64_e32 v[10:11], v[4:5]
	s_cbranch_vccnz .LBB0_8
; %bb.1:
	s_load_dwordx2 s[2:3], s[0:1], 0x10
	s_add_u32 s12, s10, 8
	s_addc_u32 s13, s11, 0
	s_mov_b64 s[14:15], 1
	v_mov_b64_e32 v[2:3], 0
	s_waitcnt lgkmcnt(0)
	s_add_u32 s16, s2, 8
	s_addc_u32 s17, s3, 0
	v_mov_b64_e32 v[8:9], v[4:5]
.LBB0_2:                                ; =>This Inner Loop Header: Depth=1
	s_load_dwordx2 s[18:19], s[16:17], 0x0
                                        ; implicit-def: $vgpr10_vgpr11
	s_waitcnt lgkmcnt(0)
	v_or_b32_e32 v7, s19, v9
	v_cmp_ne_u64_e32 vcc, 0, v[6:7]
	s_and_saveexec_b64 s[2:3], vcc
	s_xor_b64 s[20:21], exec, s[2:3]
	s_cbranch_execz .LBB0_4
; %bb.3:                                ;   in Loop: Header=BB0_2 Depth=1
	v_cvt_f32_u32_e32 v1, s18
	v_cvt_f32_u32_e32 v5, s19
	s_sub_u32 s2, 0, s18
	s_subb_u32 s3, 0, s19
	v_fmac_f32_e32 v1, 0x4f800000, v5
	v_rcp_f32_e32 v1, v1
	s_nop 0
	v_mul_f32_e32 v1, 0x5f7ffffc, v1
	v_mul_f32_e32 v5, 0x2f800000, v1
	v_trunc_f32_e32 v5, v5
	v_fmac_f32_e32 v1, 0xcf800000, v5
	v_cvt_u32_f32_e32 v5, v5
	v_cvt_u32_f32_e32 v1, v1
	v_mul_lo_u32 v7, s2, v5
	v_mul_hi_u32 v10, s2, v1
	v_mul_lo_u32 v11, s3, v1
	v_add_u32_e32 v7, v10, v7
	v_mul_lo_u32 v14, s2, v1
	v_add_u32_e32 v7, v7, v11
	v_mul_hi_u32 v10, v1, v14
	v_mul_hi_u32 v13, v1, v7
	v_mul_lo_u32 v12, v1, v7
	v_mov_b32_e32 v11, v6
	v_lshl_add_u64 v[10:11], v[10:11], 0, v[12:13]
	v_mul_hi_u32 v13, v5, v14
	v_mul_lo_u32 v14, v5, v14
	v_add_co_u32_e32 v10, vcc, v10, v14
	v_mul_hi_u32 v12, v5, v7
	s_nop 0
	v_addc_co_u32_e32 v10, vcc, v11, v13, vcc
	v_mov_b32_e32 v11, v6
	s_nop 0
	v_addc_co_u32_e32 v13, vcc, 0, v12, vcc
	v_mul_lo_u32 v12, v5, v7
	v_lshl_add_u64 v[10:11], v[10:11], 0, v[12:13]
	v_add_co_u32_e32 v1, vcc, v1, v10
	v_mul_hi_u32 v10, s2, v1
	s_nop 0
	v_addc_co_u32_e32 v5, vcc, v5, v11, vcc
	v_mul_lo_u32 v7, s2, v5
	v_add_u32_e32 v7, v10, v7
	v_mul_lo_u32 v10, s3, v1
	v_add_u32_e32 v7, v7, v10
	v_mul_lo_u32 v12, s2, v1
	v_mul_hi_u32 v15, v5, v12
	v_mul_lo_u32 v16, v5, v12
	v_mul_hi_u32 v11, v1, v7
	;; [unrolled: 2-line block ×3, first 2 shown]
	v_mov_b32_e32 v13, v6
	v_lshl_add_u64 v[10:11], v[12:13], 0, v[10:11]
	v_add_co_u32_e32 v10, vcc, v10, v16
	v_mul_hi_u32 v14, v5, v7
	s_nop 0
	v_addc_co_u32_e32 v10, vcc, v11, v15, vcc
	v_mul_lo_u32 v12, v5, v7
	s_nop 0
	v_addc_co_u32_e32 v13, vcc, 0, v14, vcc
	v_mov_b32_e32 v11, v6
	v_lshl_add_u64 v[10:11], v[10:11], 0, v[12:13]
	v_add_co_u32_e32 v1, vcc, v1, v10
	v_mul_hi_u32 v12, v8, v1
	s_nop 0
	v_addc_co_u32_e32 v5, vcc, v5, v11, vcc
	v_mad_u64_u32 v[10:11], s[2:3], v8, v5, 0
	v_mov_b32_e32 v13, v6
	v_lshl_add_u64 v[10:11], v[12:13], 0, v[10:11]
	v_mad_u64_u32 v[14:15], s[2:3], v9, v1, 0
	v_add_co_u32_e32 v1, vcc, v10, v14
	v_mad_u64_u32 v[12:13], s[2:3], v9, v5, 0
	s_nop 0
	v_addc_co_u32_e32 v10, vcc, v11, v15, vcc
	v_mov_b32_e32 v11, v6
	s_nop 0
	v_addc_co_u32_e32 v13, vcc, 0, v13, vcc
	v_lshl_add_u64 v[10:11], v[10:11], 0, v[12:13]
	v_mul_lo_u32 v1, s19, v10
	v_mul_lo_u32 v5, s18, v11
	v_mad_u64_u32 v[12:13], s[2:3], s18, v10, 0
	v_add3_u32 v1, v13, v5, v1
	v_sub_u32_e32 v5, v9, v1
	v_mov_b32_e32 v7, s19
	v_sub_co_u32_e32 v16, vcc, v8, v12
	v_lshl_add_u64 v[14:15], v[10:11], 0, 1
	s_nop 0
	v_subb_co_u32_e64 v5, s[2:3], v5, v7, vcc
	v_subrev_co_u32_e64 v7, s[2:3], s18, v16
	v_subb_co_u32_e32 v1, vcc, v9, v1, vcc
	s_nop 0
	v_subbrev_co_u32_e64 v5, s[2:3], 0, v5, s[2:3]
	v_cmp_le_u32_e64 s[2:3], s19, v5
	v_cmp_le_u32_e32 vcc, s19, v1
	s_nop 0
	v_cndmask_b32_e64 v12, 0, -1, s[2:3]
	v_cmp_le_u32_e64 s[2:3], s18, v7
	s_nop 1
	v_cndmask_b32_e64 v7, 0, -1, s[2:3]
	v_cmp_eq_u32_e64 s[2:3], s19, v5
	s_nop 1
	v_cndmask_b32_e64 v5, v12, v7, s[2:3]
	v_lshl_add_u64 v[12:13], v[10:11], 0, 2
	v_cmp_ne_u32_e64 s[2:3], 0, v5
	v_cndmask_b32_e64 v7, 0, -1, vcc
	v_cmp_le_u32_e32 vcc, s18, v16
	v_cndmask_b32_e64 v5, v15, v13, s[2:3]
	s_nop 0
	v_cndmask_b32_e64 v13, 0, -1, vcc
	v_cmp_eq_u32_e32 vcc, s19, v1
	s_nop 1
	v_cndmask_b32_e32 v1, v7, v13, vcc
	v_cmp_ne_u32_e32 vcc, 0, v1
	v_cndmask_b32_e64 v1, v14, v12, s[2:3]
	s_nop 0
	v_cndmask_b32_e32 v11, v11, v5, vcc
	v_cndmask_b32_e32 v10, v10, v1, vcc
.LBB0_4:                                ;   in Loop: Header=BB0_2 Depth=1
	s_andn2_saveexec_b64 s[2:3], s[20:21]
	s_cbranch_execz .LBB0_6
; %bb.5:                                ;   in Loop: Header=BB0_2 Depth=1
	v_cvt_f32_u32_e32 v1, s18
	s_sub_i32 s20, 0, s18
	v_mov_b32_e32 v11, v6
	v_rcp_iflag_f32_e32 v1, v1
	s_nop 0
	v_mul_f32_e32 v1, 0x4f7ffffe, v1
	v_cvt_u32_f32_e32 v1, v1
	v_mul_lo_u32 v5, s20, v1
	v_mul_hi_u32 v5, v1, v5
	v_add_u32_e32 v1, v1, v5
	v_mul_hi_u32 v1, v8, v1
	v_mul_lo_u32 v5, v1, s18
	v_sub_u32_e32 v5, v8, v5
	v_add_u32_e32 v7, 1, v1
	v_subrev_u32_e32 v10, s18, v5
	v_cmp_le_u32_e32 vcc, s18, v5
	s_nop 1
	v_cndmask_b32_e32 v5, v5, v10, vcc
	v_cndmask_b32_e32 v1, v1, v7, vcc
	v_add_u32_e32 v7, 1, v1
	v_cmp_le_u32_e32 vcc, s18, v5
	s_nop 1
	v_cndmask_b32_e32 v10, v1, v7, vcc
.LBB0_6:                                ;   in Loop: Header=BB0_2 Depth=1
	s_or_b64 exec, exec, s[2:3]
	v_mad_u64_u32 v[12:13], s[2:3], v10, s18, 0
	s_load_dwordx2 s[2:3], s[12:13], 0x0
	s_add_u32 s14, s14, 1
	v_mul_lo_u32 v1, v11, s18
	v_mul_lo_u32 v5, v10, s19
	s_addc_u32 s15, s15, 0
	v_add3_u32 v1, v13, v5, v1
	v_sub_co_u32_e32 v5, vcc, v8, v12
	s_add_u32 s12, s12, 8
	s_nop 0
	v_subb_co_u32_e32 v1, vcc, v9, v1, vcc
	s_addc_u32 s13, s13, 0
	v_mov_b64_e32 v[8:9], s[6:7]
	s_waitcnt lgkmcnt(0)
	v_mul_lo_u32 v1, s2, v1
	v_mul_lo_u32 v7, s3, v5
	v_mad_u64_u32 v[2:3], s[2:3], s2, v5, v[2:3]
	s_add_u32 s16, s16, 8
	v_cmp_ge_u64_e32 vcc, s[14:15], v[8:9]
	v_add3_u32 v3, v7, v3, v1
	s_addc_u32 s17, s17, 0
	s_cbranch_vccnz .LBB0_8
; %bb.7:                                ;   in Loop: Header=BB0_2 Depth=1
	v_mov_b64_e32 v[8:9], v[10:11]
	s_branch .LBB0_2
.LBB0_8:
	s_lshl_b64 s[2:3], s[6:7], 3
	s_add_u32 s2, s10, s2
	s_addc_u32 s3, s11, s3
	s_load_dwordx2 s[6:7], s[2:3], 0x0
	s_load_dwordx2 s[10:11], s[0:1], 0x20
	s_mov_b32 s2, 0x3c3c3c4
	v_mov_b32_e32 v12, 0
                                        ; implicit-def: $vgpr41
                                        ; implicit-def: $vgpr23
                                        ; implicit-def: $vgpr39
                                        ; implicit-def: $vgpr22
                                        ; implicit-def: $vgpr37
                                        ; implicit-def: $vgpr20
                                        ; implicit-def: $vgpr35
                                        ; implicit-def: $vgpr19
                                        ; implicit-def: $vgpr33
                                        ; implicit-def: $vgpr18
                                        ; implicit-def: $vgpr31
                                        ; implicit-def: $vgpr17
                                        ; implicit-def: $vgpr28
                                        ; implicit-def: $vgpr15
                                        ; implicit-def: $vgpr25
                                        ; implicit-def: $vgpr14
                                        ; implicit-def: $vgpr26
                                        ; implicit-def: $vgpr16
                                        ; implicit-def: $vgpr32
                                        ; implicit-def: $vgpr21
                                        ; implicit-def: $vgpr36
                                        ; implicit-def: $vgpr24
                                        ; implicit-def: $vgpr40
                                        ; implicit-def: $vgpr27
                                        ; implicit-def: $vgpr43
                                        ; implicit-def: $vgpr34
                                        ; implicit-def: $vgpr44
                                        ; implicit-def: $vgpr38
                                        ; implicit-def: $vgpr46
                                        ; implicit-def: $vgpr42
                                        ; implicit-def: $vgpr47
                                        ; implicit-def: $vgpr45
	s_waitcnt lgkmcnt(0)
	v_mul_lo_u32 v1, s6, v11
	v_mul_lo_u32 v5, s7, v10
	v_mad_u64_u32 v[2:3], s[0:1], s6, v10, v[2:3]
	v_add3_u32 v3, v5, v3, v1
	v_mul_hi_u32 v1, v0, s2
	v_mul_u32_u24_e32 v1, 0x44, v1
	v_cmp_gt_u64_e64 s[0:1], s[10:11], v[10:11]
	v_sub_u32_e32 v0, v0, v1
	v_lshl_add_u64 v[2:3], v[2:3], 2, s[8:9]
	s_and_saveexec_b64 s[2:3], s[0:1]
	s_cbranch_execz .LBB0_10
; %bb.9:
	v_mov_b32_e32 v1, 0
	v_lshl_add_u64 v[6:7], v[0:1], 2, v[2:3]
	v_add_co_u32_e32 v8, vcc, 0x1000, v6
	global_load_dword v23, v[6:7], off offset:272
	global_load_dword v22, v[6:7], off offset:544
	;; [unrolled: 1-line block ×15, first 2 shown]
	v_addc_co_u32_e32 v9, vcc, 0, v7, vcc
	global_load_dword v45, v[8:9], off offset:256
	global_load_dword v12, v[6:7], off
	s_waitcnt vmcnt(16)
	v_lshrrev_b32_e32 v41, 16, v23
	s_waitcnt vmcnt(15)
	v_lshrrev_b32_e32 v39, 16, v22
	;; [unrolled: 2-line block ×16, first 2 shown]
.LBB0_10:
	s_or_b64 exec, exec, s[2:3]
	s_mov_b32 s2, 0xaaaaaaab
	v_mul_hi_u32 v1, v4, s2
	v_lshrrev_b32_e32 v1, 1, v1
	v_add_f16_e32 v8, v23, v45
	v_lshl_add_u32 v1, v1, 1, v1
	v_sub_f16_e32 v9, v41, v47
	v_mul_f16_e32 v10, 0xb461, v8
	s_mov_b32 s3, 0xbbb2
	v_add_f16_e32 v11, v22, v42
	v_sub_u32_e32 v1, v4, v1
	v_fma_f16 v4, v9, s3, v10
	v_sub_f16_e32 v13, v39, v46
	v_mul_f16_e32 v48, 0xbacd, v11
	s_movk_i32 s2, 0x3836
	v_add_f16_e32 v49, v20, v38
	s_waitcnt vmcnt(0)
	v_add_f16_e32 v4, v4, v12
	v_fma_f16 v5, v13, s2, v48
	v_sub_f16_e32 v50, v37, v44
	v_mul_f16_e32 v51, 0x39e9, v49
	s_movk_i32 s55, 0x3964
	v_add_f16_e32 v53, v19, v34
	v_add_f16_e32 v4, v5, v4
	v_fma_f16 v5, v50, s55, v51
	v_sub_f16_e32 v54, v35, v43
	v_mul_f16_e32 v55, 0x3722, v53
	s_mov_b32 s6, 0xbb29
	v_add_f16_e32 v56, v18, v27
	s_mov_b32 s56, 0xb1e1
	v_add_f16_e32 v4, v5, v4
	v_fma_f16 v5, v54, s6, v55
	v_sub_f16_e32 v57, v33, v40
	v_mul_f16_e32 v58, 0xbbdd, v56
	v_add_f16_e32 v59, v17, v24
	v_add_f16_e32 v4, v5, v4
	v_fma_f16 v5, v57, s56, v58
	v_sub_f16_e32 v60, v31, v36
	v_mul_f16_e32 v61, 0x2de8, v59
	s_movk_i32 s57, 0x3bf7
	v_add_f16_e32 v62, v15, v21
	v_add_f16_e32 v4, v5, v4
	v_fma_f16 v5, v60, s57, v61
	v_sub_f16_e32 v63, v28, v32
	v_mul_f16_e32 v64, 0x3b76, v62
	s_mov_b32 s6, 0xb5c8
	v_add_f16_e32 v65, v14, v16
	s_mov_b32 s58, 0xba62
	v_add_f16_e32 v4, v5, v4
	v_fma_f16 v5, v63, s6, v64
	v_sub_f16_e32 v66, v25, v26
	v_mul_f16_e32 v67, 0xb8d2, v65
	s_mov_b32 s18, 0x39e93b76
	v_add_f16_e32 v4, v5, v4
	v_fma_f16 v5, v66, s58, v67
	s_mov_b32 s23, 0xb964b5c8
	v_pk_mul_f16 v29, v8, s18 op_sel_hi:[0,1]
	s_mov_b32 s20, 0x2de839e9
	v_add_f16_e32 v4, v5, v4
	v_pk_fma_f16 v5, v9, s23, v29 op_sel_hi:[0,1,1]
	s_mov_b32 s26, 0xbbf7b964
	v_pk_mul_f16 v68, v11, s20 op_sel_hi:[0,1]
	s_mov_b32 s24, 0xb8d23722
	v_pk_add_f16 v5, v5, v12 op_sel_hi:[1,0]
	v_pk_fma_f16 v6, v13, s26, v68 op_sel_hi:[0,1,1]
	s_mov_b32 s28, 0xba62bb29
	v_pk_mul_f16 v69, v49, s24 op_sel_hi:[0,1]
	s_mov_b32 s27, 0xbbdd2de8
	v_pk_add_f16 v5, v6, v5
	v_pk_fma_f16 v6, v50, s28, v69 op_sel_hi:[0,1,1]
	s_mov_b32 s30, 0xb1e1bbf7
	v_pk_mul_f16 v70, v53, s27 op_sel_hi:[0,1]
	s_mov_b32 s29, 0xbacdb461
	v_pk_add_f16 v5, v6, v5
	;; [unrolled: 5-line block ×7, first 2 shown]
	v_pk_fma_f16 v5, v9, s40, v75 op_sel_hi:[0,1,1]
	s_mov_b32 s42, 0xb1e1ba62
	v_pk_mul_f16 v76, v11, s41 op_sel_hi:[0,1]
	s_mov_b32 s43, 0xb461bbdd
	v_pk_add_f16 v5, v5, v12 op_sel_hi:[1,0]
	v_pk_fma_f16 v6, v13, s42, v76 op_sel_hi:[0,1,1]
	s_mov_b32 s44, 0x3bb231e1
	v_pk_mul_f16 v77, v49, s43 op_sel_hi:[0,1]
	s_mov_b32 s45, 0x3b76b461
	v_pk_add_f16 v5, v6, v5
	v_pk_fma_f16 v6, v50, s44, v77 op_sel_hi:[0,1,1]
	s_mov_b32 s46, 0x35c83bb2
	v_pk_mul_f16 v78, v53, s45 op_sel_hi:[0,1]
	s_mov_b32 s47, 0x372239e9
	v_pk_add_f16 v5, v6, v5
	;; [unrolled: 5-line block ×7, first 2 shown]
	v_pk_fma_f16 v6, v9, s8, v83 op_sel_hi:[0,1,1]
	s_mov_b32 s10, 0x3b293bb2
	v_pk_mul_f16 v84, v11, s7 op_sel_hi:[0,1]
	s_mov_b32 s9, 0x2de83b76
	v_pk_add_f16 v6, v6, v12 op_sel_hi:[1,0]
	v_pk_fma_f16 v7, v13, s10, v84 op_sel_hi:[0,1,1]
	s_mov_b32 s12, 0xbbf7b5c8
	v_pk_mul_f16 v85, v49, s9 op_sel_hi:[0,1]
	s_mov_b32 s11, 0xb8d2bacd
	v_pk_add_f16 v6, v7, v6
	v_pk_fma_f16 v7, v50, s12, v85 op_sel_hi:[0,1,1]
	s_mov_b32 s14, 0x3a62b836
	v_pk_mul_f16 v86, v53, s11 op_sel_hi:[0,1]
	s_mov_b32 s13, 0x3b762de8
	v_pk_add_f16 v6, v7, v6
	;; [unrolled: 5-line block ×5, first 2 shown]
	v_pk_fma_f16 v7, v63, s21, v89 op_sel_hi:[0,1,1]
	s_mov_b32 s25, 0xbbb23b29
	v_pk_mul_f16 v90, v65, s22 op_sel_hi:[0,1]
	v_pk_add_f16 v6, v7, v6
	v_pk_fma_f16 v7, v66, s25, v90 op_sel_hi:[0,1,1]
	v_pk_add_f16 v7, v7, v6
	v_alignbit_b32 v6, v4, v5, 16
	v_add_f16_e32 v4, v23, v12
	v_add_f16_e32 v4, v22, v4
	;; [unrolled: 1-line block ×16, first 2 shown]
	v_alignbit_b32 v5, v5, v30, 16
	v_pack_b32_f16 v4, v4, v30
	v_mul_u32_u24_e32 v30, 0x484, v1
	v_lshl_add_u32 v91, v30, 1, 0
	v_mad_u32_u24 v52, v0, 34, v91
	v_mul_f16_e32 v1, 0xbbdd, v8
	ds_write_b128 v52, v[4:7]
	v_fma_f16 v4, v9, s56, v1
	s_movk_i32 s56, 0x35c8
	v_mul_f16_e32 v5, 0x3b76, v11
	v_add_f16_e32 v4, v4, v12
	v_fma_f16 v6, v13, s56, v5
	v_add_f16_e32 v4, v6, v4
	s_mov_b32 s59, 0xb836
	v_mul_f16_e32 v6, 0xbacd, v49
	v_fma_f16 v7, v50, s59, v6
	v_add_f16_e32 v4, v7, v4
	v_mul_f16_e32 v7, 0x39e9, v53
	v_fma_f16 v92, v54, s55, v7
	v_add_f16_e32 v4, v92, v4
	;; [unrolled: 3-line block ×3, first 2 shown]
	s_movk_i32 s58, 0x3b29
	v_mul_f16_e32 v93, 0x3722, v59
	v_fma_f16 v29, v9, s56, v29
	v_fma_f16 v94, v60, s58, v93
	v_add_f16_e32 v29, v29, v12
	v_fma_f16 v68, v13, s55, v68
	v_add_f16_e32 v4, v94, v4
	v_mul_f16_e32 v94, 0xb461, v62
	v_add_f16_e32 v29, v68, v29
	v_fma_f16 v68, v50, s58, v69
	v_fma_f16 v95, v63, s3, v94
	v_add_f16_e32 v29, v68, v29
	v_fma_f16 v68, v54, s57, v70
	s_movk_i32 s3, 0x3bb2
	v_add_f16_e32 v29, v68, v29
	v_fma_f16 v68, v57, s3, v71
	s_movk_i32 s3, 0x3a62
	v_add_f16_e32 v29, v68, v29
	v_fma_f16 v68, v60, s3, v72
	v_add_f16_e32 v29, v68, v29
	v_fma_f16 v68, v63, s2, v73
	s_movk_i32 s2, 0x31e1
	v_add_f16_e32 v29, v68, v29
	v_fma_f16 v68, v66, s2, v74
	v_add_f16_e32 v29, v68, v29
	v_pk_mul_f16 v68, v9, s8 op_sel_hi:[0,1]
	s_mov_b32 s55, 0xffff
	v_sub_f16_e32 v69, v83, v68
	v_bfi_b32 v1, s55, v1, v83
	v_mul_f16_e32 v83, 0xb1e1, v9
	v_bfi_b32 v68, s55, v83, v68
	v_pk_mul_f16 v70, v13, s10 op_sel_hi:[0,1]
	v_pk_add_f16 v1, v1, v68 neg_lo:[0,1] neg_hi:[0,1]
	v_mul_f16_e32 v68, 0x35c8, v13
	v_bfi_b32 v5, s55, v5, v84
	v_bfi_b32 v68, s55, v68, v70
	v_add_f16_e32 v69, v69, v12
	v_sub_f16_e32 v71, v84, v70
	v_pk_add_f16 v5, v5, v68 neg_lo:[0,1] neg_hi:[0,1]
	v_pk_add_f16 v1, v1, v12 op_sel_hi:[1,0]
	v_add_f16_e32 v69, v71, v69
	v_pk_mul_f16 v71, v50, s12 op_sel_hi:[0,1]
	v_pk_add_f16 v1, v5, v1
	v_bfi_b32 v5, s55, v6, v85
	v_mul_f16_e32 v6, 0xb836, v50
	v_sub_f16_e32 v72, v85, v71
	v_bfi_b32 v6, s55, v6, v71
	v_add_f16_e32 v69, v72, v69
	v_pk_mul_f16 v72, v54, s14 op_sel_hi:[0,1]
	v_pk_add_f16 v5, v5, v6 neg_lo:[0,1] neg_hi:[0,1]
	v_mul_f16_e32 v6, 0x3964, v54
	v_sub_f16_e32 v73, v86, v72
	v_pk_add_f16 v1, v5, v1
	v_bfi_b32 v5, s55, v7, v86
	v_bfi_b32 v6, s55, v6, v72
	v_add_f16_e32 v69, v73, v69
	v_pk_mul_f16 v73, v57, s16 op_sel_hi:[0,1]
	v_pk_add_f16 v5, v5, v6 neg_lo:[0,1] neg_hi:[0,1]
	v_mul_f16_e32 v6, 0xba62, v57
	v_add_f16_e32 v4, v95, v4
	v_mul_f16_e32 v95, 0x2de8, v65
	v_sub_f16_e32 v74, v87, v73
	v_pk_add_f16 v1, v5, v1
	v_bfi_b32 v5, s55, v92, v87
	v_bfi_b32 v6, s55, v6, v73
	v_fma_f16 v96, v66, s57, v95
	v_add_f16_e32 v69, v74, v69
	v_pk_mul_f16 v74, v60, s19 op_sel_hi:[0,1]
	v_pk_add_f16 v5, v5, v6 neg_lo:[0,1] neg_hi:[0,1]
	v_mul_f16_e32 v6, 0x3b29, v60
	v_add_f16_e32 v4, v96, v4
	v_sub_f16_e32 v96, v88, v74
	v_pk_add_f16 v1, v5, v1
	v_bfi_b32 v5, s55, v93, v88
	v_bfi_b32 v6, s55, v6, v74
	v_add_f16_e32 v69, v96, v69
	v_pk_mul_f16 v96, v63, s21 op_sel_hi:[0,1]
	v_pk_add_f16 v5, v5, v6 neg_lo:[0,1] neg_hi:[0,1]
	v_mul_f16_e32 v6, 0xbbb2, v63
	v_sub_f16_e32 v97, v89, v96
	v_pk_add_f16 v1, v5, v1
	v_bfi_b32 v5, s55, v94, v89
	v_bfi_b32 v6, s55, v6, v96
	v_add_f16_e32 v69, v97, v69
	v_pk_mul_f16 v97, v66, s25 op_sel_hi:[0,1]
	v_pk_add_f16 v5, v5, v6 neg_lo:[0,1] neg_hi:[0,1]
	v_mul_f16_e32 v6, 0x3bf7, v66
	v_pk_add_f16 v1, v5, v1
	v_bfi_b32 v5, s55, v95, v90
	v_bfi_b32 v6, s55, v6, v97
	v_pk_add_f16 v5, v5, v6 neg_lo:[0,1] neg_hi:[0,1]
	v_mul_f16_e32 v6, 0xbbb2, v9
	v_pk_mul_f16 v7, v9, s40 op_sel_hi:[0,1]
	v_pk_add_f16 v1, v5, v1
	v_bfi_b32 v5, s55, v10, v75
	v_bfi_b32 v6, s55, v6, v7
	v_mul_f16_e32 v7, 0x3836, v13
	v_pk_mul_f16 v10, v13, s42 op_sel_hi:[0,1]
	v_pk_add_f16 v5, v5, v6 neg_lo:[0,1] neg_hi:[0,1]
	v_bfi_b32 v6, s55, v48, v76
	v_bfi_b32 v7, s55, v7, v10
	v_pk_add_f16 v6, v6, v7 neg_lo:[0,1] neg_hi:[0,1]
	v_pk_add_f16 v5, v5, v12 op_sel_hi:[1,0]
	v_mul_f16_e32 v7, 0x3964, v50
	v_pk_mul_f16 v10, v50, s44 op_sel_hi:[0,1]
	v_pk_add_f16 v5, v6, v5
	v_bfi_b32 v6, s55, v51, v77
	v_bfi_b32 v7, s55, v7, v10
	v_pk_add_f16 v6, v6, v7 neg_lo:[0,1] neg_hi:[0,1]
	v_mul_f16_e32 v7, 0xbb29, v54
	v_pk_mul_f16 v10, v54, s46 op_sel_hi:[0,1]
	v_pk_add_f16 v5, v6, v5
	v_bfi_b32 v6, s55, v55, v78
	v_bfi_b32 v7, s55, v7, v10
	v_pk_add_f16 v6, v6, v7 neg_lo:[0,1] neg_hi:[0,1]
	;; [unrolled: 6-line block ×5, first 2 shown]
	v_mul_f16_e32 v7, 0xba62, v66
	v_pk_mul_f16 v10, v66, s54 op_sel_hi:[0,1]
	v_pk_add_f16 v5, v6, v5
	v_bfi_b32 v6, s55, v67, v82
	v_bfi_b32 v7, s55, v7, v10
	s_mov_b32 s2, 0x39643b29
	v_pk_add_f16 v6, v6, v7 neg_lo:[0,1] neg_hi:[0,1]
	s_mov_b32 s57, 0x39e93722
	v_pk_mul_f16 v7, v9, s2 op_sel_hi:[0,1]
	s_mov_b32 s2, 0x3bf73a62
	v_pk_fma_f16 v7, v8, s57, v7 op_sel_hi:[0,1,1]
	s_mov_b32 s58, 0x2de8b8d2
	v_pk_mul_f16 v8, v13, s2 op_sel_hi:[0,1]
	s_mov_b32 s2, 0x3a62b1e1
	v_pk_fma_f16 v8, v11, s58, v8 op_sel_hi:[0,1,1]
	v_pk_add_f16 v6, v6, v5
	v_pk_add_f16 v5, v7, v12 op_sel_hi:[1,0]
	s_mov_b32 s59, 0xb8d2bbdd
	v_pk_mul_f16 v7, v50, s2 op_sel_hi:[0,1]
	v_pk_add_f16 v5, v8, v5
	v_pk_fma_f16 v7, v49, s59, v7 op_sel_hi:[0,1,1]
	s_mov_b32 s2, 0x31e1bbb2
	v_pk_add_f16 v5, v7, v5
	s_mov_b32 s60, 0xbbddb461
	v_pk_mul_f16 v7, v54, s2 op_sel_hi:[0,1]
	v_pk_fma_f16 v7, v53, s60, v7 op_sel_hi:[0,1,1]
	s_mov_b32 s2, 0xb836b964
	v_pk_add_f16 v5, v7, v5
	s_mov_b32 s61, 0xbacd39e9
	v_pk_mul_f16 v7, v57, s2 op_sel_hi:[0,1]
	;; [unrolled: 5-line block ×4, first 2 shown]
	v_pk_fma_f16 v7, v62, s63, v7 op_sel_hi:[0,1,1]
	s_mov_b32 s2, 0xb5c83836
	v_sub_f16_e32 v98, v90, v97
	v_pk_add_f16 v5, v7, v5
	s_mov_b32 s64, 0x3b76bacd
	v_pk_mul_f16 v7, v66, s2 op_sel_hi:[0,1]
	v_add_f16_e32 v69, v98, v69
	v_pk_fma_f16 v7, v65, s64, v7 op_sel_hi:[0,1,1]
	v_pk_add_f16 v7, v7, v5
	v_alignbit_b32 v5, v69, v1, 16
	v_pack_b32_f16 v4, v4, v1
	v_lshlrev_b32_e32 v1, 5, v0
	ds_write_b128 v52, v[4:7] offset:16
	ds_write_b16 v52, v29 offset:32
	v_lshl_add_u32 v7, v0, 1, v91
	v_sub_u32_e32 v1, v52, v1
	v_add_u32_e32 v8, 0x154, v0
	v_add_u32_e32 v6, 0x110, v0
	;; [unrolled: 1-line block ×4, first 2 shown]
	s_waitcnt lgkmcnt(0)
	s_barrier
	ds_read_u16 v58, v7
	ds_read_u16 v59, v1 offset:136
	ds_read_u16 v60, v1 offset:272
	;; [unrolled: 1-line block ×7, first 2 shown]
	v_lshl_add_u32 v5, v6, 1, v91
	v_lshl_add_u32 v9, v8, 1, v91
	v_lshl_add_u32 v11, v10, 1, v91
	v_lshl_add_u32 v13, v4, 1, v91
	ds_read_u16 v55, v1 offset:1700
	ds_read_u16 v54, v1 offset:1836
	;; [unrolled: 1-line block ×3, first 2 shown]
	ds_read_u16 v63, v11
	ds_read_u16 v62, v13
	;; [unrolled: 1-line block ×4, first 2 shown]
	ds_read_u16 v56, v1 offset:2108
	s_mov_b32 s66, 0xb461
	s_mov_b32 s70, 0xbbdd
	;; [unrolled: 1-line block ×3, first 2 shown]
	s_movk_i32 s69, 0x3b76
	s_movk_i32 s67, 0x39e9
	;; [unrolled: 1-line block ×3, first 2 shown]
	s_mov_b32 s68, 0xb8d2
	s_movk_i32 s56, 0x2de8
	v_cmp_gt_u32_e32 vcc, 34, v0
                                        ; implicit-def: $vgpr57
	s_and_saveexec_b64 s[2:3], vcc
	s_cbranch_execz .LBB0_12
; %bb.11:
	ds_read_u16 v29, v1 offset:1088
	ds_read_u16 v57, v1 offset:2244
.LBB0_12:
	s_or_b64 exec, exec, s[2:3]
	v_add_f16_sdwa v66, v41, v12 dst_sel:DWORD dst_unused:UNUSED_PAD src0_sel:DWORD src1_sel:WORD_1
	v_add_f16_e32 v66, v39, v66
	v_add_f16_e32 v66, v37, v66
	;; [unrolled: 1-line block ×13, first 2 shown]
	v_sub_f16_e32 v23, v23, v45
	v_add_f16_e32 v66, v46, v66
	v_add_f16_e32 v41, v41, v47
	v_mul_f16_e32 v69, 0xb1e1, v23
	v_sub_f16_e32 v22, v22, v42
	v_add_f16_e32 v66, v47, v66
	v_mul_f16_e32 v47, 0xbbb2, v23
	v_fma_f16 v70, v41, s70, -v69
	v_add_f16_e32 v39, v39, v46
	v_mul_f16_e32 v72, 0x35c8, v22
	v_sub_f16_e32 v20, v20, v38
	v_fma_f16 v67, v41, s66, -v47
	v_add_f16_sdwa v70, v70, v12 dst_sel:DWORD dst_unused:UNUSED_PAD src0_sel:DWORD src1_sel:WORD_1
	v_mul_f16_e32 v46, 0x3836, v22
	v_fma_f16 v73, v39, s69, -v72
	v_add_f16_e32 v37, v37, v44
	v_mul_f16_e32 v74, 0xb836, v20
	v_sub_f16_e32 v19, v19, v34
	v_add_f16_sdwa v67, v67, v12 dst_sel:DWORD dst_unused:UNUSED_PAD src0_sel:DWORD src1_sel:WORD_1
	v_fma_f16 v71, v39, s65, -v46
	v_add_f16_e32 v70, v73, v70
	v_mul_f16_e32 v44, 0x3964, v20
	v_fma_f16 v75, v37, s65, -v74
	v_add_f16_e32 v35, v35, v43
	v_mul_f16_e32 v76, 0x3964, v19
	v_sub_f16_e32 v27, v18, v27
	v_add_f16_e32 v67, v71, v67
	v_fma_f16 v73, v37, s67, -v44
	v_add_f16_e32 v70, v75, v70
	v_mul_f16_e32 v43, 0xbb29, v19
	v_fma_f16 v77, v35, s67, -v76
	v_add_f16_e32 v33, v33, v40
	v_mul_f16_e32 v78, 0xba62, v27
	v_add_f16_e32 v67, v73, v67
	v_fma_f16 v75, v35, s71, -v43
	v_add_f16_e32 v70, v77, v70
	v_mul_f16_e32 v77, 0xb1e1, v27
	v_fma_f16 v79, v33, s68, -v78
	v_sub_f16_e32 v24, v17, v24
	v_add_f16_e32 v67, v75, v67
	v_fma_f16 v18, v33, s70, -v77
	v_add_f16_e32 v70, v79, v70
	v_add_f16_e32 v31, v31, v36
	v_mul_f16_e32 v79, 0x3bf7, v24
	v_add_f16_e32 v18, v18, v67
	v_fma_f16 v17, v31, s56, -v79
	v_mul_f16_e32 v81, 0x3b29, v24
	v_sub_f16_e32 v15, v15, v21
	v_add_f16_e32 v17, v17, v18
	v_fma_f16 v18, v31, s71, -v81
	v_add_f16_e32 v28, v28, v32
	v_mul_f16_e32 v32, 0xb5c8, v15
	v_add_f16_e32 v18, v18, v70
	v_fma_f16 v70, v28, s69, -v32
	v_mul_f16_e32 v83, 0xbbb2, v15
	v_add_f16_e32 v70, v70, v17
	v_fma_f16 v17, v28, s66, -v83
	v_sub_f16_e32 v14, v14, v16
	v_pk_mul_f16 v16, v23, s23 op_sel_hi:[0,1]
	v_add_f16_e32 v84, v17, v18
	v_fma_f16 v17, v41, s69, v16
	v_pk_fma_f16 v16, v41, s18, v16 op_sel_hi:[0,1,1] neg_lo:[0,0,1] neg_hi:[0,0,1]
	v_pk_mul_f16 v18, v22, s26 op_sel_hi:[0,1]
	v_add_f16_e32 v25, v25, v26
	v_pk_add_f16 v16, v16, v12 op_sel:[0,1]
	v_fma_f16 v26, v39, s67, v18
	v_pk_fma_f16 v18, v39, s20, v18 op_sel_hi:[0,1,1] neg_lo:[0,0,1] neg_hi:[0,0,1]
	v_add_f16_sdwa v17, v17, v12 dst_sel:DWORD dst_unused:UNUSED_PAD src0_sel:DWORD src1_sel:WORD_1
	v_pk_add_f16 v16, v18, v16
	v_pk_mul_f16 v18, v20, s28 op_sel_hi:[0,1]
	v_add_f16_e32 v17, v26, v17
	v_fma_f16 v26, v37, s71, v18
	v_pk_fma_f16 v18, v37, s24, v18 op_sel_hi:[0,1,1] neg_lo:[0,0,1] neg_hi:[0,0,1]
	v_pk_add_f16 v16, v18, v16
	v_pk_mul_f16 v18, v19, s30 op_sel_hi:[0,1]
	v_add_f16_e32 v17, v26, v17
	v_fma_f16 v26, v35, s56, v18
	v_pk_fma_f16 v18, v35, s27, v18 op_sel_hi:[0,1,1] neg_lo:[0,0,1] neg_hi:[0,0,1]
	;; [unrolled: 5-line block ×4, first 2 shown]
	v_pk_add_f16 v16, v18, v16
	v_pk_mul_f16 v18, v15, s37 op_sel_hi:[0,1]
	v_add_f16_e32 v17, v26, v17
	v_fma_f16 v26, v28, s65, v18
	v_add_f16_e32 v17, v26, v17
	v_pk_fma_f16 v18, v28, s34, v18 op_sel_hi:[0,1,1] neg_lo:[0,0,1] neg_hi:[0,0,1]
	v_pk_mul_f16 v26, v14, s38 op_sel_hi:[0,1]
	v_pk_add_f16 v16, v18, v16
	v_pk_mul_f16 v18, v25, s36 op_sel_hi:[0,1]
	v_pk_fma_f16 v85, v25, s36, v26 op_sel_hi:[0,1,1] neg_lo:[0,0,1] neg_hi:[0,0,1]
	v_add_f16_e32 v18, v18, v26
	v_pk_add_f16 v26, v85, v16
	v_pk_mul_f16 v85, v23, s40 op_sel_hi:[0,1]
	v_add_f16_e32 v18, v18, v17
	v_pk_fma_f16 v17, v41, s39, v85 op_sel_hi:[0,1,1] neg_lo:[0,0,1] neg_hi:[0,0,1]
	v_pk_mul_f16 v87, v22, s42 op_sel_hi:[0,1]
	v_pk_add_f16 v17, v17, v12 op_sel:[0,1]
	v_pk_fma_f16 v88, v39, s41, v87 op_sel_hi:[0,1,1] neg_lo:[0,0,1] neg_hi:[0,0,1]
	v_pk_mul_f16 v89, v20, s44 op_sel_hi:[0,1]
	v_pk_add_f16 v17, v88, v17
	v_pk_fma_f16 v90, v37, s43, v89 op_sel_hi:[0,1,1] neg_lo:[0,0,1] neg_hi:[0,0,1]
	v_pk_mul_f16 v91, v19, s46 op_sel_hi:[0,1]
	v_pk_add_f16 v17, v90, v17
	v_pk_fma_f16 v92, v35, s45, v91 op_sel_hi:[0,1,1] neg_lo:[0,0,1] neg_hi:[0,0,1]
	v_pk_mul_f16 v93, v27, s48 op_sel_hi:[0,1]
	v_pk_add_f16 v17, v92, v17
	v_pk_fma_f16 v94, v33, s47, v93 op_sel_hi:[0,1,1] neg_lo:[0,0,1] neg_hi:[0,0,1]
	v_pk_mul_f16 v95, v24, s50 op_sel_hi:[0,1]
	v_pk_add_f16 v17, v94, v17
	v_pk_fma_f16 v96, v31, s49, v95 op_sel_hi:[0,1,1] neg_lo:[0,0,1] neg_hi:[0,0,1]
	v_pk_mul_f16 v97, v15, s52 op_sel_hi:[0,1]
	v_pk_add_f16 v17, v96, v17
	v_pk_fma_f16 v98, v28, s51, v97 op_sel_hi:[0,1,1] neg_lo:[0,0,1] neg_hi:[0,0,1]
	s_mov_b32 s2, 0xb964bb29
	v_pk_add_f16 v98, v98, v17
	v_pk_mul_f16 v17, v23, s2 op_sel_hi:[0,1]
	s_mov_b32 s2, 0xbbf7ba62
	v_pk_fma_f16 v17, v41, s57, v17 op_sel_hi:[0,1,1]
	v_pk_mul_f16 v102, v22, s2 op_sel_hi:[0,1]
	v_pk_add_f16 v17, v17, v12 op_sel:[0,1]
	v_pk_fma_f16 v102, v39, s58, v102 op_sel_hi:[0,1,1]
	s_mov_b32 s2, 0xba6231e1
	v_mul_f16_e32 v45, 0xb461, v41
	v_pk_mul_f16 v16, v41, s39 op_sel_hi:[0,1]
	v_pk_add_f16 v17, v102, v17
	v_pk_mul_f16 v102, v20, s2 op_sel_hi:[0,1]
	v_mul_f16_e32 v42, 0xbacd, v39
	v_pk_mul_f16 v86, v39, s41 op_sel_hi:[0,1]
	v_pk_fma_f16 v102, v37, s59, v102 op_sel_hi:[0,1,1]
	s_mov_b32 s2, 0xb1e13bb2
	v_bfi_b32 v16, s55, v45, v16
	v_bfi_b32 v45, s55, v47, v85
	v_pk_add_f16 v17, v102, v17
	v_pk_mul_f16 v102, v19, s2 op_sel_hi:[0,1]
	v_pk_add_f16 v16, v16, v45
	v_bfi_b32 v42, s55, v42, v86
	v_bfi_b32 v45, s55, v46, v87
	v_mul_f16_e32 v38, 0x39e9, v37
	v_pk_mul_f16 v88, v37, s43 op_sel_hi:[0,1]
	v_pk_fma_f16 v102, v35, s60, v102 op_sel_hi:[0,1,1]
	s_mov_b32 s2, 0x38363964
	v_pk_add_f16 v16, v16, v12 op_sel:[0,1]
	v_pk_add_f16 v42, v42, v45
	v_pk_add_f16 v17, v102, v17
	v_pk_mul_f16 v102, v27, s2 op_sel_hi:[0,1]
	v_pk_add_f16 v16, v42, v16
	v_bfi_b32 v38, s55, v38, v88
	v_bfi_b32 v42, s55, v44, v89
	v_mul_f16_e32 v34, 0x3722, v35
	v_pk_mul_f16 v90, v35, s45 op_sel_hi:[0,1]
	v_pk_fma_f16 v102, v33, s61, v102 op_sel_hi:[0,1,1]
	s_mov_b32 s2, 0x3bb2b5c8
	v_pk_add_f16 v38, v38, v42
	v_pk_add_f16 v17, v102, v17
	v_pk_mul_f16 v102, v24, s2 op_sel_hi:[0,1]
	v_pk_add_f16 v16, v38, v16
	v_bfi_b32 v34, s55, v34, v90
	v_bfi_b32 v38, s55, v43, v91
	v_mul_f16_e32 v40, 0xbbdd, v33
	v_pk_mul_f16 v92, v33, s47 op_sel_hi:[0,1]
	v_pk_fma_f16 v102, v31, s62, v102 op_sel_hi:[0,1,1]
	s_mov_b32 s2, 0x3b29bbf7
	;; [unrolled: 10-line block ×3, first 2 shown]
	v_pk_add_f16 v34, v34, v38
	v_mul_f16_e32 v21, 0x3b76, v28
	v_pk_mul_f16 v96, v28, s51 op_sel_hi:[0,1]
	v_pk_mul_f16 v100, v14, s54 op_sel_hi:[0,1]
	v_pk_add_f16 v17, v102, v17
	v_pk_mul_f16 v102, v14, s2 op_sel_hi:[0,1]
	v_pk_add_f16 v16, v34, v16
	v_bfi_b32 v34, s55, v36, v94
	v_bfi_b32 v36, s55, v79, v95
	v_pk_fma_f16 v101, v25, s53, v100 op_sel_hi:[0,1,1] neg_lo:[0,0,1] neg_hi:[0,0,1]
	v_pk_fma_f16 v102, v25, s64, v102 op_sel_hi:[0,1,1]
	v_pk_add_f16 v34, v34, v36
	v_bfi_b32 v21, s55, v21, v96
	v_bfi_b32 v32, s55, v32, v97
	v_pk_mul_f16 v99, v25, s53 op_sel_hi:[0,1]
	v_pk_add_f16 v17, v102, v17
	v_pk_add_f16 v98, v101, v98
	v_mul_f16_e32 v101, 0xb8d2, v25
	v_mul_f16_e32 v102, 0xba62, v14
	v_pk_add_f16 v16, v34, v16
	v_pk_add_f16 v21, v21, v32
	v_bfi_b32 v32, s55, v102, v100
	v_pk_add_f16 v16, v21, v16
	v_bfi_b32 v21, s55, v101, v99
	v_pk_add_f16 v21, v21, v32
	v_mul_f16_e32 v68, 0xbbdd, v41
	v_pk_add_f16 v16, v21, v16
	v_pk_mul_f16 v21, v41, s6 op_sel_hi:[0,1]
	v_pk_mul_f16 v32, v23, s8 op_sel_hi:[0,1]
	v_add_f16_e32 v23, v21, v32
	v_pk_fma_f16 v34, v41, s6, v32 op_sel_hi:[0,1,1] neg_lo:[0,0,1] neg_hi:[0,0,1]
	v_pk_mul_f16 v36, v39, s7 op_sel_hi:[0,1]
	v_pk_mul_f16 v22, v22, s10 op_sel_hi:[0,1]
	v_bfi_b32 v21, s55, v68, v21
	v_bfi_b32 v32, s55, v69, v32
	v_mul_f16_e32 v71, 0x3b76, v39
	v_add_f16_sdwa v23, v23, v12 dst_sel:DWORD dst_unused:UNUSED_PAD src0_sel:DWORD src1_sel:WORD_1
	v_add_f16_e32 v38, v36, v22
	v_pk_add_f16 v21, v21, v32
	v_pk_add_f16 v34, v34, v12 op_sel:[0,1]
	v_add_f16_e32 v23, v38, v23
	v_pk_fma_f16 v38, v39, s7, v22 op_sel_hi:[0,1,1] neg_lo:[0,0,1] neg_hi:[0,0,1]
	v_pk_add_f16 v12, v21, v12 op_sel:[0,1]
	v_bfi_b32 v21, s55, v71, v36
	v_bfi_b32 v22, s55, v72, v22
	v_mul_f16_e32 v73, 0xbacd, v37
	v_pk_add_f16 v34, v38, v34
	v_pk_mul_f16 v38, v37, s9 op_sel_hi:[0,1]
	v_pk_mul_f16 v20, v20, s12 op_sel_hi:[0,1]
	v_pk_add_f16 v21, v21, v22
	v_add_f16_e32 v39, v38, v20
	v_pk_fma_f16 v37, v37, s9, v20 op_sel_hi:[0,1,1] neg_lo:[0,0,1] neg_hi:[0,0,1]
	v_pk_add_f16 v12, v21, v12
	v_bfi_b32 v21, s55, v73, v38
	v_bfi_b32 v20, s55, v74, v20
	v_mul_f16_e32 v75, 0x39e9, v35
	v_pk_add_f16 v34, v37, v34
	v_pk_mul_f16 v37, v35, s11 op_sel_hi:[0,1]
	v_pk_mul_f16 v19, v19, s14 op_sel_hi:[0,1]
	v_pk_add_f16 v20, v21, v20
	v_add_f16_e32 v23, v39, v23
	v_add_f16_e32 v39, v37, v19
	v_pk_fma_f16 v35, v35, s11, v19 op_sel_hi:[0,1,1] neg_lo:[0,0,1] neg_hi:[0,0,1]
	v_pk_mul_f16 v27, v27, s16 op_sel_hi:[0,1]
	v_pk_add_f16 v12, v20, v12
	v_bfi_b32 v20, s55, v75, v37
	v_bfi_b32 v19, s55, v76, v19
	v_mul_f16_e32 v67, 0xb8d2, v33
	v_pk_add_f16 v34, v35, v34
	v_pk_mul_f16 v35, v33, s13 op_sel_hi:[0,1]
	v_pk_fma_f16 v33, v33, s13, v27 op_sel_hi:[0,1,1] neg_lo:[0,0,1] neg_hi:[0,0,1]
	v_pk_mul_f16 v24, v24, s19 op_sel_hi:[0,1]
	v_pk_add_f16 v19, v20, v19
	v_mul_f16_e32 v80, 0x3722, v31
	v_add_f16_e32 v23, v39, v23
	v_add_f16_e32 v39, v35, v27
	v_pk_add_f16 v33, v33, v34
	v_pk_mul_f16 v34, v31, s15 op_sel_hi:[0,1]
	v_pk_fma_f16 v31, v31, s15, v24 op_sel_hi:[0,1,1] neg_lo:[0,0,1] neg_hi:[0,0,1]
	v_pk_add_f16 v12, v19, v12
	v_bfi_b32 v19, s55, v67, v35
	v_bfi_b32 v20, s55, v78, v27
	v_add_f16_e32 v23, v39, v23
	v_add_f16_e32 v39, v34, v24
	v_pk_add_f16 v31, v31, v33
	v_pk_mul_f16 v33, v28, s17 op_sel_hi:[0,1]
	v_pk_mul_f16 v15, v15, s21 op_sel_hi:[0,1]
	v_pk_add_f16 v19, v19, v20
	v_mul_f16_e32 v82, 0xb461, v28
	v_add_f16_e32 v23, v39, v23
	v_add_f16_e32 v39, v33, v15
	v_pk_fma_f16 v28, v28, s17, v15 op_sel_hi:[0,1,1] neg_lo:[0,0,1] neg_hi:[0,0,1]
	v_pk_add_f16 v12, v19, v12
	v_bfi_b32 v19, s55, v80, v34
	v_bfi_b32 v20, s55, v81, v24
	v_add_f16_e32 v23, v39, v23
	v_pk_add_f16 v28, v28, v31
	v_pk_mul_f16 v31, v25, s22 op_sel_hi:[0,1]
	v_pk_mul_f16 v39, v14, s25 op_sel_hi:[0,1]
	v_pk_add_f16 v19, v19, v20
	v_pk_fma_f16 v40, v25, s22, v39 op_sel_hi:[0,1,1] neg_lo:[0,0,1] neg_hi:[0,0,1]
	v_add_f16_e32 v41, v31, v39
	v_pk_add_f16 v12, v19, v12
	v_bfi_b32 v19, s55, v82, v33
	v_bfi_b32 v15, s55, v83, v15
	v_add_f16_e32 v41, v41, v23
	v_pk_add_f16 v23, v40, v28
	v_mul_f16_e32 v28, 0x2de8, v25
	v_mul_f16_e32 v14, 0x3bf7, v14
	v_pk_add_f16 v15, v19, v15
	v_fma_f16 v103, v25, s68, -v102
	v_fma_f16 v25, v25, s56, -v14
	v_pk_add_f16 v12, v15, v12
	v_bfi_b32 v15, s55, v28, v31
	v_bfi_b32 v14, s55, v14, v39
	v_pk_add_f16 v14, v15, v14
	v_add_f16_e32 v70, v103, v70
	v_add_f16_e32 v25, v25, v84
	v_pk_add_f16 v12, v14, v12
	v_alignbit_b32 v22, v70, v98, 16
	v_alignbit_b32 v21, v98, v26, 16
	v_pack_b32_f16 v20, v66, v26
	v_alignbit_b32 v15, v41, v12, 16
	v_pack_b32_f16 v14, v25, v12
	s_waitcnt lgkmcnt(0)
	s_barrier
	ds_write_b128 v52, v[20:23]
	ds_write_b128 v52, v[14:17] offset:16
	ds_write_b16 v52, v18 offset:32
	s_waitcnt lgkmcnt(0)
	s_barrier
	ds_read_u16 v12, v7
	ds_read_u16 v15, v1 offset:136
	ds_read_u16 v17, v1 offset:272
	;; [unrolled: 1-line block ×10, first 2 shown]
	ds_read_u16 v22, v9
	ds_read_u16 v21, v11
	;; [unrolled: 1-line block ×4, first 2 shown]
	ds_read_u16 v33, v1 offset:2108
                                        ; implicit-def: $vgpr35
	s_and_saveexec_b64 s[2:3], vcc
	s_cbranch_execz .LBB0_14
; %bb.13:
	ds_read_u16 v18, v1 offset:1088
	ds_read_u16 v35, v1 offset:2244
.LBB0_14:
	s_or_b64 exec, exec, s[2:3]
	s_movk_i32 s2, 0xf1
	v_add_u16_e32 v37, 0x44, v0
	v_mul_lo_u16_sdwa v38, v37, s2 dst_sel:DWORD dst_unused:UNUSED_PAD src0_sel:BYTE_0 src1_sel:DWORD
	v_lshrrev_b16_e32 v46, 12, v38
	v_mul_lo_u16_e32 v38, 17, v46
	v_sub_u16_e32 v47, v37, v38
	v_add_u16_e32 v37, 0x88, v0
	v_mul_lo_u16_sdwa v27, v0, s2 dst_sel:DWORD dst_unused:UNUSED_PAD src0_sel:BYTE_0 src1_sel:DWORD
	v_mul_lo_u16_sdwa v38, v37, s2 dst_sel:DWORD dst_unused:UNUSED_PAD src0_sel:BYTE_0 src1_sel:DWORD
	v_lshrrev_b16_e32 v27, 12, v27
	v_lshrrev_b16_e32 v66, 12, v38
	v_mul_lo_u16_e32 v36, 17, v27
	v_mul_lo_u16_e32 v38, 17, v66
	v_add_u32_e32 v14, 0xcc, v0
	v_sub_u16_e32 v45, v0, v36
	v_mov_b32_e32 v36, 2
	v_sub_u16_e32 v67, v37, v38
	s_mov_b32 s2, 0xf0f1
	v_lshlrev_b32_sdwa v44, v36, v45 dst_sel:DWORD dst_unused:UNUSED_PAD src0_sel:DWORD src1_sel:BYTE_0
	v_lshlrev_b32_sdwa v52, v36, v47 dst_sel:DWORD dst_unused:UNUSED_PAD src0_sel:DWORD src1_sel:BYTE_0
	;; [unrolled: 1-line block ×3, first 2 shown]
	v_mul_u32_u24_sdwa v36, v14, s2 dst_sel:DWORD dst_unused:UNUSED_PAD src0_sel:WORD_0 src1_sel:DWORD
	v_lshrrev_b32_e32 v69, 20, v36
	v_mul_lo_u16_e32 v36, 17, v69
	v_sub_u16_e32 v70, v14, v36
	v_mul_u32_u24_sdwa v36, v6, s2 dst_sel:DWORD dst_unused:UNUSED_PAD src0_sel:WORD_0 src1_sel:DWORD
	v_lshrrev_b32_e32 v71, 20, v36
	v_mul_lo_u16_e32 v36, 17, v71
	v_sub_u16_e32 v72, v6, v36
	;; [unrolled: 4-line block ×4, first 2 shown]
	v_mul_u32_u24_sdwa v36, v4, s2 dst_sel:DWORD dst_unused:UNUSED_PAD src0_sel:WORD_0 src1_sel:DWORD
	v_lshrrev_b32_e32 v80, 20, v36
	v_mul_lo_u16_e32 v36, 17, v80
	v_add_u32_e32 v16, 0x220, v0
	v_lshlrev_b32_e32 v14, 2, v70
	v_sub_u16_e32 v81, v4, v36
	v_lshlrev_b32_e32 v73, 2, v72
	v_lshlrev_b32_e32 v76, 2, v75
	v_lshlrev_b32_e32 v79, 2, v78
	v_lshlrev_b32_e32 v82, 2, v81
	global_load_dword v43, v44, s[4:5]
	global_load_dword v42, v52, s[4:5]
	;; [unrolled: 1-line block ×8, first 2 shown]
	v_mul_u32_u24_sdwa v14, v16, s2 dst_sel:DWORD dst_unused:UNUSED_PAD src0_sel:WORD_0 src1_sel:DWORD
	v_lshrrev_b32_e32 v68, 20, v14
	v_mul_lo_u16_e32 v14, 17, v68
	v_sub_u16_e32 v73, v16, v14
	v_lshlrev_b32_e32 v14, 2, v73
	global_load_dword v44, v14, s[4:5]
	s_movk_i32 s2, 0x44
	s_waitcnt lgkmcnt(0)
	s_barrier
	s_mov_b32 s3, 0x5040100
	s_waitcnt vmcnt(8)
	v_mul_f16_sdwa v14, v34, v43 dst_sel:DWORD dst_unused:UNUSED_PAD src0_sel:DWORD src1_sel:WORD_1
	s_waitcnt vmcnt(7)
	v_mul_f16_sdwa v52, v26, v42 dst_sel:DWORD dst_unused:UNUSED_PAD src0_sel:DWORD src1_sel:WORD_1
	v_fma_f16 v14, v51, v43, v14
	v_fma_f16 v52, v50, v42, v52
	v_sub_f16_e32 v87, v58, v14
	v_sub_f16_e32 v52, v59, v52
	v_fma_f16 v58, v58, 2.0, -v87
	s_waitcnt vmcnt(1)
	v_mul_f16_sdwa v85, v33, v36 dst_sel:DWORD dst_unused:UNUSED_PAD src0_sel:DWORD src1_sel:WORD_1
	v_fma_f16 v85, v56, v36, v85
	v_sub_f16_e32 v85, v62, v85
	v_fma_f16 v88, v62, 2.0, -v85
	v_mad_u32_u24 v62, v27, s2, 0
	v_lshlrev_b32_e32 v27, 1, v30
	s_waitcnt vmcnt(0)
	v_mul_f16_sdwa v86, v35, v44 dst_sel:DWORD dst_unused:UNUSED_PAD src0_sel:DWORD src1_sel:WORD_1
	v_fma_f16 v86, v57, v44, v86
	v_sub_f16_e32 v14, v29, v86
	v_mov_b32_e32 v86, 1
	v_lshlrev_b32_sdwa v45, v86, v45 dst_sel:DWORD dst_unused:UNUSED_PAD src0_sel:DWORD src1_sel:BYTE_0
	v_mad_u32_u24 v30, v46, s2, 0
	v_lshlrev_b32_sdwa v46, v86, v47 dst_sel:DWORD dst_unused:UNUSED_PAD src0_sel:DWORD src1_sel:BYTE_0
	v_fma_f16 v59, v59, 2.0, -v52
	v_add3_u32 v45, v62, v45, v27
	v_add3_u32 v46, v30, v46, v27
	v_mad_u32_u24 v30, v66, s2, 0
	v_lshlrev_b32_sdwa v47, v86, v67 dst_sel:DWORD dst_unused:UNUSED_PAD src0_sel:DWORD src1_sel:BYTE_0
	v_mul_f16_sdwa v76, v24, v41 dst_sel:DWORD dst_unused:UNUSED_PAD src0_sel:DWORD src1_sel:WORD_1
	ds_write_b16 v45, v58
	ds_write_b16 v45, v87 offset:34
	ds_write_b16 v46, v59
	ds_write_b16 v46, v52 offset:34
	v_add3_u32 v47, v30, v47, v27
	v_mad_u32_u24 v30, v69, s2, 0
	v_lshlrev_b32_e32 v52, 1, v70
	v_fma_f16 v76, v48, v41, v76
	v_add3_u32 v52, v30, v52, v27
	v_perm_b32 v30, v74, v71, s3
	v_sub_f16_e32 v76, v60, v76
	v_pk_mul_lo_u16 v30, v30, s2 op_sel_hi:[1,0]
	v_fma_f16 v60, v60, 2.0, -v76
	v_and_b32_e32 v58, 0xfffc, v30
	v_mul_f16_sdwa v79, v25, v40 dst_sel:DWORD dst_unused:UNUSED_PAD src0_sel:DWORD src1_sel:WORD_1
	ds_write_b16 v47, v60
	ds_write_b16 v47, v76 offset:34
	v_add_u32_e32 v58, 0, v58
	v_lshlrev_b32_e32 v59, 1, v72
	v_mov_b32_e32 v60, 0
	v_fma_f16 v79, v49, v40, v79
	v_add3_u32 v58, v58, v59, v27
	v_add_u32_sdwa v30, v60, v30 dst_sel:DWORD dst_unused:UNUSED_PAD src0_sel:DWORD src1_sel:WORD_1
	v_lshlrev_b32_e32 v59, 1, v75
	v_sub_f16_e32 v79, v61, v79
	v_add3_u32 v59, v30, v59, v27
	v_perm_b32 v30, v80, v77, s3
	v_mul_f16_sdwa v82, v28, v39 dst_sel:DWORD dst_unused:UNUSED_PAD src0_sel:DWORD src1_sel:WORD_1
	v_mul_f16_sdwa v83, v31, v38 dst_sel:DWORD dst_unused:UNUSED_PAD src0_sel:DWORD src1_sel:WORD_1
	v_mul_f16_sdwa v84, v32, v37 dst_sel:DWORD dst_unused:UNUSED_PAD src0_sel:DWORD src1_sel:WORD_1
	v_fma_f16 v61, v61, 2.0, -v79
	v_pk_mul_lo_u16 v30, v30, s2 op_sel_hi:[1,0]
	v_fma_f16 v82, v55, v39, v82
	v_fma_f16 v83, v54, v38, v83
	;; [unrolled: 1-line block ×3, first 2 shown]
	ds_write_b16 v52, v61
	ds_write_b16 v52, v79 offset:34
	v_and_b32_e32 v61, 0xfffc, v30
	v_sub_f16_e32 v82, v65, v82
	v_sub_f16_e32 v83, v64, v83
	;; [unrolled: 1-line block ×3, first 2 shown]
	v_add_u32_e32 v61, 0, v61
	v_lshlrev_b32_e32 v62, 1, v78
	v_fma_f16 v65, v65, 2.0, -v82
	v_fma_f16 v64, v64, 2.0, -v83
	;; [unrolled: 1-line block ×3, first 2 shown]
	v_add3_u32 v62, v61, v62, v27
	v_add_u32_sdwa v30, v60, v30 dst_sel:DWORD dst_unused:UNUSED_PAD src0_sel:DWORD src1_sel:WORD_1
	v_lshlrev_b32_e32 v60, 1, v81
	ds_write_b16 v58, v65
	ds_write_b16 v58, v82 offset:34
	ds_write_b16 v59, v64
	ds_write_b16 v59, v83 offset:34
	;; [unrolled: 2-line block ×3, first 2 shown]
	v_add3_u32 v63, v30, v60, v27
	v_mul_lo_u16_e32 v60, 34, v68
	v_lshl_add_u32 v61, v73, 1, 0
	ds_write_b16 v63, v88
	ds_write_b16 v63, v85 offset:34
	s_and_saveexec_b64 s[2:3], vcc
	s_cbranch_execz .LBB0_16
; %bb.15:
	v_lshlrev_b32_e32 v30, 1, v60
	v_fma_f16 v29, v29, 2.0, -v14
	v_add3_u32 v30, v61, v30, v27
	ds_write_b16 v30, v29
	ds_write_b16 v30, v14 offset:34
.LBB0_16:
	s_or_b64 exec, exec, s[2:3]
	v_mul_f16_sdwa v30, v50, v42 dst_sel:DWORD dst_unused:UNUSED_PAD src0_sel:DWORD src1_sel:WORD_1
	v_fma_f16 v26, v26, v42, -v30
	v_mul_f16_sdwa v30, v48, v41 dst_sel:DWORD dst_unused:UNUSED_PAD src0_sel:DWORD src1_sel:WORD_1
	v_fma_f16 v24, v24, v41, -v30
	;; [unrolled: 2-line block ×6, first 2 shown]
	v_mul_f16_sdwa v32, v56, v36 dst_sel:DWORD dst_unused:UNUSED_PAD src0_sel:DWORD src1_sel:WORD_1
	v_sub_f16_e32 v38, v17, v24
	v_mul_f16_sdwa v29, v51, v43 dst_sel:DWORD dst_unused:UNUSED_PAD src0_sel:DWORD src1_sel:WORD_1
	v_fma_f16 v32, v33, v36, -v32
	v_fma_f16 v42, v17, 2.0, -v38
	v_lshlrev_b32_e32 v17, 1, v0
	v_fma_f16 v29, v34, v43, -v29
	v_mul_f16_sdwa v33, v57, v44 dst_sel:DWORD dst_unused:UNUSED_PAD src0_sel:DWORD src1_sel:WORD_1
	v_sub_f16_e32 v43, v19, v25
	v_sub_f16_e32 v49, v23, v28
	;; [unrolled: 1-line block ×5, first 2 shown]
	v_add3_u32 v17, 0, v17, v27
	v_fma_f16 v33, v35, v44, -v33
	v_sub_f16_e32 v35, v12, v29
	v_sub_f16_e32 v36, v15, v26
	v_fma_f16 v48, v19, 2.0, -v43
	v_fma_f16 v50, v23, 2.0, -v49
	;; [unrolled: 1-line block ×5, first 2 shown]
	s_waitcnt lgkmcnt(0)
	s_barrier
	ds_read_u16 v22, v7
	ds_read_u16 v31, v1 offset:136
	ds_read_u16 v29, v1 offset:272
	;; [unrolled: 1-line block ×3, first 2 shown]
	ds_read_u16 v24, v5
	ds_read_u16 v23, v9
	;; [unrolled: 1-line block ×4, first 2 shown]
	ds_read_u16 v26, v17 offset:1088
	ds_read_u16 v20, v17 offset:1224
	;; [unrolled: 1-line block ×9, first 2 shown]
	v_fma_f16 v12, v12, 2.0, -v35
	v_fma_f16 v37, v15, 2.0, -v36
	v_sub_f16_e32 v15, v18, v33
	s_waitcnt lgkmcnt(0)
	s_barrier
	ds_write_b16 v45, v12
	ds_write_b16 v45, v35 offset:34
	ds_write_b16 v46, v37
	ds_write_b16 v46, v36 offset:34
	;; [unrolled: 2-line block ×8, first 2 shown]
	s_and_saveexec_b64 s[2:3], vcc
	s_cbranch_execz .LBB0_18
; %bb.17:
	v_fma_f16 v12, v18, 2.0, -v15
	v_lshlrev_b32_e32 v18, 1, v60
	v_add3_u32 v18, v61, v18, v27
	ds_write_b16 v18, v12
	ds_write_b16 v18, v15 offset:34
.LBB0_18:
	s_or_b64 exec, exec, s[2:3]
	v_subrev_u32_e32 v12, 34, v0
	v_cndmask_b32_e32 v37, v12, v0, vcc
	v_lshlrev_b32_e32 v32, 4, v37
	v_mov_b32_e32 v33, 0
	v_lshl_add_u64 v[32:33], v[32:33], 2, s[4:5]
	s_waitcnt lgkmcnt(0)
	s_barrier
	global_load_dwordx4 v[46:49], v[32:33], off offset:68
	global_load_dwordx4 v[54:57], v[32:33], off offset:84
	;; [unrolled: 1-line block ×4, first 2 shown]
	ds_read_u16 v43, v7
	ds_read_u16 v18, v1 offset:136
	ds_read_u16 v32, v1 offset:272
	;; [unrolled: 1-line block ×3, first 2 shown]
	ds_read_u16 v35, v5
	ds_read_u16 v42, v9
	;; [unrolled: 1-line block ×4, first 2 shown]
	ds_read_u16 v53, v17 offset:1088
	ds_read_u16 v58, v17 offset:1224
	;; [unrolled: 1-line block ×9, first 2 shown]
	s_movk_i32 s19, 0x3b76
	s_movk_i32 s18, 0x39e9
	;; [unrolled: 1-line block ×4, first 2 shown]
	s_mov_b32 s20, 0xb461
	s_mov_b32 s21, 0xb8d2
	;; [unrolled: 1-line block ×4, first 2 shown]
	v_lshlrev_b32_e32 v37, 1, v37
	s_waitcnt lgkmcnt(0)
	s_barrier
	s_mov_b32 s9, 0xb5c8
	s_mov_b32 s8, 0xb964
	s_mov_b32 s7, 0xbb29
	s_mov_b32 s6, 0xbbf7
	s_mov_b32 s10, 0xbbb2
	s_mov_b32 s11, 0xba62
	s_mov_b32 s12, 0xb836
	s_mov_b32 s13, 0xb1e1
	s_movk_i32 s16, 0x3836
	s_movk_i32 s14, 0x3bb2
	;; [unrolled: 1-line block ×4, first 2 shown]
	s_waitcnt vmcnt(3)
	v_mul_f16_sdwa v36, v18, v46 dst_sel:DWORD dst_unused:UNUSED_PAD src0_sel:DWORD src1_sel:WORD_1
	v_mul_f16_sdwa v38, v31, v46 dst_sel:DWORD dst_unused:UNUSED_PAD src0_sel:DWORD src1_sel:WORD_1
	s_waitcnt vmcnt(1)
	v_mul_f16_sdwa v95, v30, v68 dst_sel:DWORD dst_unused:UNUSED_PAD src0_sel:DWORD src1_sel:WORD_1
	s_waitcnt vmcnt(0)
	v_mul_f16_sdwa v102, v76, v72 dst_sel:DWORD dst_unused:UNUSED_PAD src0_sel:DWORD src1_sel:WORD_1
	v_mul_f16_sdwa v81, v24, v49 dst_sel:DWORD dst_unused:UNUSED_PAD src0_sel:DWORD src1_sel:WORD_1
	;; [unrolled: 1-line block ×4, first 2 shown]
	v_fma_f16 v64, v31, v46, v36
	v_fma_f16 v31, v62, v68, -v95
	v_fma_f16 v62, v40, v72, v102
	v_mul_f16_sdwa v40, v40, v72 dst_sel:DWORD dst_unused:UNUSED_PAD src0_sel:DWORD src1_sel:WORD_1
	v_mul_f16_sdwa v51, v32, v47 dst_sel:DWORD dst_unused:UNUSED_PAD src0_sel:DWORD src1_sel:WORD_1
	;; [unrolled: 1-line block ×8, first 2 shown]
	v_fma_f16 v65, v18, v46, -v38
	v_fma_f16 v38, v35, v49, -v81
	;; [unrolled: 1-line block ×4, first 2 shown]
	v_mul_f16_sdwa v40, v77, v73 dst_sel:DWORD dst_unused:UNUSED_PAD src0_sel:DWORD src1_sel:WORD_1
	v_mul_f16_sdwa v79, v28, v48 dst_sel:DWORD dst_unused:UNUSED_PAD src0_sel:DWORD src1_sel:WORD_1
	;; [unrolled: 1-line block ×6, first 2 shown]
	v_fma_f16 v59, v29, v47, v51
	v_fma_f16 v51, v28, v48, v78
	;; [unrolled: 1-line block ×4, first 2 shown]
	v_fma_f16 v21, v58, v66, -v91
	v_fma_f16 v66, v39, v73, v40
	v_mul_f16_sdwa v39, v39, v73 dst_sel:DWORD dst_unused:UNUSED_PAD src0_sel:DWORD src1_sel:WORD_1
	v_mul_f16_sdwa v89, v26, v57 dst_sel:DWORD dst_unused:UNUSED_PAD src0_sel:DWORD src1_sel:WORD_1
	;; [unrolled: 1-line block ×3, first 2 shown]
	v_fma_f16 v18, v26, v57, v88
	v_fma_f16 v25, v25, v67, v92
	v_fma_f16 v26, v61, v67, -v93
	v_fma_f16 v67, v77, v73, -v39
	v_mul_f16_sdwa v52, v29, v47 dst_sel:DWORD dst_unused:UNUSED_PAD src0_sel:DWORD src1_sel:WORD_1
	v_mul_f16_sdwa v82, v42, v54 dst_sel:DWORD dst_unused:UNUSED_PAD src0_sel:DWORD src1_sel:WORD_1
	;; [unrolled: 1-line block ×5, first 2 shown]
	v_fma_f16 v29, v45, v55, -v85
	v_fma_f16 v55, v44, v71, v100
	v_sub_f16_e32 v44, v65, v67
	v_mul_f16_sdwa v83, v23, v54 dst_sel:DWORD dst_unused:UNUSED_PAD src0_sel:DWORD src1_sel:WORD_1
	v_mul_f16_sdwa v98, v74, v70 dst_sel:DWORD dst_unused:UNUSED_PAD src0_sel:DWORD src1_sel:WORD_1
	;; [unrolled: 1-line block ×3, first 2 shown]
	v_fma_f16 v60, v32, v47, -v52
	v_fma_f16 v36, v24, v49, v80
	v_fma_f16 v32, v23, v54, v82
	;; [unrolled: 1-line block ×3, first 2 shown]
	v_fma_f16 v24, v50, v56, -v87
	v_fma_f16 v19, v53, v57, -v89
	v_fma_f16 v34, v34, v69, v96
	v_add_f16_e32 v40, v64, v66
	v_mul_f16_e32 v45, 0xb5c8, v44
	v_mul_f16_e32 v47, 0xb964, v44
	;; [unrolled: 1-line block ×8, first 2 shown]
	v_fma_f16 v52, v33, v48, -v79
	v_fma_f16 v33, v42, v54, -v83
	v_fma_f16 v30, v30, v68, v94
	v_fma_f16 v41, v41, v70, v98
	v_fma_f16 v42, v74, v70, -v99
	v_fma_f16 v57, v75, v71, -v101
	v_fma_f16 v46, v40, s19, v45
	v_fma_f16 v45, v40, s19, -v45
	v_fma_f16 v48, v40, s18, v47
	v_fma_f16 v47, v40, s18, -v47
	v_fma_f16 v50, v40, s3, v49
	v_fma_f16 v49, v40, s3, -v49
	v_fma_f16 v54, v40, s2, v53
	v_fma_f16 v53, v40, s2, -v53
	v_fma_f16 v58, v40, s20, v56
	v_fma_f16 v56, v40, s20, -v56
	v_fma_f16 v68, v40, s21, v61
	v_fma_f16 v61, v40, s21, -v61
	v_fma_f16 v70, v40, s22, v69
	v_fma_f16 v69, v40, s22, -v69
	v_fma_f16 v71, v40, s23, v44
	v_fma_f16 v40, v40, s23, -v44
	v_sub_f16_e32 v44, v60, v63
	v_add_f16_e32 v39, v22, v64
	v_add_f16_e32 v46, v22, v46
	;; [unrolled: 1-line block ×18, first 2 shown]
	v_mul_f16_e32 v72, 0xb964, v44
	v_fma_f16 v73, v40, s18, v72
	v_fma_f16 v72, v40, s18, -v72
	v_add_f16_e32 v45, v72, v45
	v_mul_f16_e32 v72, 0xbbf7, v44
	v_add_f16_e32 v46, v73, v46
	v_fma_f16 v73, v40, s2, v72
	v_fma_f16 v72, v40, s2, -v72
	v_add_f16_e32 v47, v72, v47
	v_mul_f16_e32 v72, 0xba62, v44
	v_add_f16_e32 v48, v73, v48
	v_fma_f16 v73, v40, s21, v72
	v_fma_f16 v72, v40, s21, -v72
	v_add_f16_e32 v49, v72, v49
	v_mul_f16_e32 v72, 0xb1e1, v44
	v_add_f16_e32 v50, v73, v50
	v_fma_f16 v73, v40, s23, v72
	v_fma_f16 v72, v40, s23, -v72
	v_add_f16_e32 v53, v72, v53
	v_mul_f16_e32 v72, 0x3836, v44
	v_add_f16_e32 v54, v73, v54
	v_fma_f16 v73, v40, s22, v72
	v_fma_f16 v72, v40, s22, -v72
	v_add_f16_e32 v56, v72, v56
	v_mul_f16_e32 v72, 0x3bb2, v44
	v_add_f16_e32 v58, v73, v58
	v_fma_f16 v73, v40, s20, v72
	v_fma_f16 v72, v40, s20, -v72
	v_add_f16_e32 v61, v72, v61
	v_mul_f16_e32 v72, 0x3b29, v44
	v_add_f16_e32 v68, v73, v68
	v_fma_f16 v73, v40, s3, v72
	v_fma_f16 v72, v40, s3, -v72
	v_mul_f16_e32 v44, 0x35c8, v44
	v_add_f16_e32 v69, v72, v69
	v_fma_f16 v72, v40, s19, v44
	v_fma_f16 v40, v40, s19, -v44
	v_sub_f16_e32 v44, v52, v57
	v_add_f16_e32 v71, v72, v71
	v_add_f16_e32 v22, v40, v22
	v_add_f16_e32 v40, v51, v55
	v_mul_f16_e32 v72, 0xbb29, v44
	v_add_f16_e32 v70, v73, v70
	v_fma_f16 v73, v40, s3, v72
	v_fma_f16 v72, v40, s3, -v72
	v_add_f16_e32 v45, v72, v45
	v_mul_f16_e32 v72, 0xba62, v44
	v_add_f16_e32 v46, v73, v46
	v_fma_f16 v73, v40, s21, v72
	v_fma_f16 v72, v40, s21, -v72
	v_add_f16_e32 v47, v72, v47
	v_mul_f16_e32 v72, 0x31e1, v44
	v_add_f16_e32 v48, v73, v48
	v_fma_f16 v73, v40, s23, v72
	v_fma_f16 v72, v40, s23, -v72
	v_add_f16_e32 v49, v72, v49
	v_mul_f16_e32 v72, 0x3bb2, v44
	v_add_f16_e32 v50, v73, v50
	v_fma_f16 v73, v40, s20, v72
	v_fma_f16 v72, v40, s20, -v72
	v_add_f16_e32 v53, v72, v53
	v_mul_f16_e32 v72, 0x3964, v44
	v_add_f16_e32 v54, v73, v54
	v_fma_f16 v73, v40, s18, v72
	v_fma_f16 v72, v40, s18, -v72
	v_add_f16_e32 v56, v72, v56
	v_mul_f16_e32 v72, 0xb5c8, v44
	v_add_f16_e32 v58, v73, v58
	v_fma_f16 v73, v40, s19, v72
	v_fma_f16 v72, v40, s19, -v72
	v_add_f16_e32 v61, v72, v61
	v_mul_f16_e32 v72, 0xbbf7, v44
	v_add_f16_e32 v68, v73, v68
	v_fma_f16 v73, v40, s2, v72
	v_fma_f16 v72, v40, s2, -v72
	v_mul_f16_e32 v44, 0xb836, v44
	v_add_f16_e32 v69, v72, v69
	v_fma_f16 v72, v40, s22, v44
	v_fma_f16 v40, v40, s22, -v44
	v_sub_f16_e32 v44, v38, v42
	v_add_f16_e32 v71, v72, v71
	v_add_f16_e32 v22, v40, v22
	v_add_f16_e32 v40, v36, v41
	v_mul_f16_e32 v72, 0xbbf7, v44
	v_add_f16_e32 v70, v73, v70
	;; [unrolled: 42-line block ×5, first 2 shown]
	v_fma_f16 v73, v40, s22, v72
	v_fma_f16 v72, v40, s22, -v72
	v_add_f16_e32 v45, v72, v45
	v_mul_f16_e32 v72, 0x3b29, v44
	v_add_f16_e32 v46, v73, v46
	v_fma_f16 v73, v40, s3, v72
	v_fma_f16 v72, v40, s3, -v72
	v_add_f16_e32 v47, v72, v47
	v_mul_f16_e32 v72, 0xbbf7, v44
	v_add_f16_e32 v48, v73, v48
	;; [unrolled: 5-line block ×6, first 2 shown]
	v_fma_f16 v73, v40, s18, v72
	v_fma_f16 v72, v40, s18, -v72
	v_mul_f16_e32 v44, 0xbbb2, v44
	v_add_f16_e32 v69, v72, v69
	v_fma_f16 v72, v40, s20, v44
	v_add_f16_e32 v71, v72, v71
	v_fma_f16 v40, v40, s20, -v44
	v_sub_f16_e32 v72, v19, v21
	v_add_f16_e32 v40, v40, v22
	v_add_f16_e32 v44, v18, v20
	v_mul_f16_e32 v22, 0xb1e1, v72
	v_add_f16_e32 v70, v73, v70
	v_fma_f16 v73, v44, s23, v22
	v_fma_f16 v22, v44, s23, -v22
	v_add_f16_e32 v22, v22, v45
	v_mul_f16_e32 v45, 0x35c8, v72
	v_add_f16_e32 v46, v73, v46
	v_fma_f16 v73, v44, s19, v45
	v_fma_f16 v45, v44, s19, -v45
	v_add_f16_e32 v45, v45, v47
	v_mul_f16_e32 v47, 0xb836, v72
	v_add_f16_e32 v39, v39, v59
	v_add_f16_e32 v48, v73, v48
	v_fma_f16 v73, v44, s22, v47
	v_fma_f16 v47, v44, s22, -v47
	v_add_f16_e32 v39, v39, v51
	v_add_f16_e32 v47, v47, v49
	v_mul_f16_e32 v49, 0x3964, v72
	v_add_f16_e32 v39, v39, v36
	v_add_f16_e32 v50, v73, v50
	v_fma_f16 v73, v44, s18, v49
	v_fma_f16 v49, v44, s18, -v49
	v_add_f16_e32 v39, v39, v32
	;; [unrolled: 7-line block ×4, first 2 shown]
	v_add_f16_e32 v56, v56, v61
	v_mul_f16_e32 v61, 0xbbb2, v72
	v_add_f16_e32 v39, v39, v25
	v_add_f16_e32 v73, v73, v68
	v_fma_f16 v68, v44, s20, v61
	v_add_f16_e32 v39, v39, v30
	v_add_f16_e32 v70, v68, v70
	v_fma_f16 v61, v44, s20, -v61
	v_mul_f16_e32 v68, 0x3bf7, v72
	v_add_f16_e32 v39, v39, v34
	v_add_f16_e32 v61, v61, v69
	v_fma_f16 v69, v44, s2, v68
	v_fma_f16 v44, v44, s2, -v68
	v_add_f16_e32 v39, v39, v41
	v_add_f16_e32 v40, v44, v40
	v_mov_b32_e32 v44, 0x484
	v_cmp_lt_u32_e64 s[2:3], 33, v0
	v_add_f16_e32 v39, v39, v55
	v_add_f16_e32 v39, v39, v62
	v_cndmask_b32_e64 v44, 0, v44, s[2:3]
	v_add_u32_e32 v44, 0, v44
	v_add_f16_e32 v39, v39, v66
	v_add3_u32 v68, v44, v37, v27
	v_add_f16_e32 v69, v69, v71
	ds_write_b16 v68, v39
	ds_write_b16 v68, v46 offset:68
	ds_write_b16 v68, v48 offset:136
	;; [unrolled: 1-line block ×16, first 2 shown]
	s_waitcnt lgkmcnt(0)
	s_barrier
	ds_read_u16 v27, v7
	ds_read_u16 v37, v1 offset:136
	ds_read_u16 v39, v1 offset:272
	;; [unrolled: 1-line block ×10, first 2 shown]
	ds_read_u16 v47, v9
	ds_read_u16 v50, v11
	;; [unrolled: 1-line block ×4, first 2 shown]
	ds_read_u16 v61, v1 offset:2108
	s_movk_i32 s21, 0x31e1
	s_movk_i32 s20, 0x3964
	;; [unrolled: 1-line block ×4, first 2 shown]
	s_and_saveexec_b64 s[2:3], vcc
	s_cbranch_execz .LBB0_20
; %bb.19:
	ds_read_u16 v22, v17 offset:1088
	ds_read_u16 v14, v1 offset:2244
.LBB0_20:
	s_or_b64 exec, exec, s[2:3]
	v_add_f16_e32 v69, v43, v65
	v_add_f16_e32 v69, v69, v60
	;; [unrolled: 1-line block ×16, first 2 shown]
	v_sub_f16_e32 v64, v64, v66
	v_mul_f16_e32 v66, 0x3b76, v65
	v_mul_f16_e32 v70, 0x39e9, v65
	;; [unrolled: 1-line block ×8, first 2 shown]
	v_add_f16_e32 v60, v60, v63
	v_add_f16_e32 v69, v69, v67
	v_fma_f16 v67, v64, s17, v66
	v_fma_f16 v66, v64, s9, v66
	;; [unrolled: 1-line block ×16, first 2 shown]
	v_sub_f16_e32 v59, v59, v62
	v_mul_f16_e32 v62, 0x39e9, v60
	v_add_f16_e32 v67, v43, v67
	v_add_f16_e32 v66, v43, v66
	;; [unrolled: 1-line block ×16, first 2 shown]
	v_fma_f16 v63, v59, s20, v62
	v_fma_f16 v62, v59, s8, v62
	v_mul_f16_e32 v64, 0x2de8, v60
	v_add_f16_e32 v62, v62, v66
	v_fma_f16 v65, v59, s18, v64
	v_fma_f16 v64, v59, s6, v64
	v_mul_f16_e32 v66, 0xb8d2, v60
	v_add_f16_e32 v63, v63, v67
	v_add_f16_e32 v64, v64, v70
	v_fma_f16 v67, v59, s19, v66
	v_fma_f16 v66, v59, s11, v66
	v_mul_f16_e32 v70, 0xbbdd, v60
	v_add_f16_e32 v65, v65, v71
	v_add_f16_e32 v66, v66, v72
	v_fma_f16 v71, v59, s21, v70
	v_fma_f16 v70, v59, s13, v70
	v_mul_f16_e32 v72, 0xbacd, v60
	v_add_f16_e32 v67, v67, v73
	v_add_f16_e32 v70, v70, v74
	v_fma_f16 v73, v59, s12, v72
	v_fma_f16 v72, v59, s16, v72
	v_mul_f16_e32 v74, 0xb461, v60
	v_add_f16_e32 v71, v71, v75
	v_add_f16_e32 v72, v72, v76
	v_fma_f16 v75, v59, s10, v74
	v_fma_f16 v74, v59, s14, v74
	v_mul_f16_e32 v76, 0x3722, v60
	v_mul_f16_e32 v60, 0x3b76, v60
	v_add_f16_e32 v52, v52, v57
	v_add_f16_e32 v73, v73, v77
	;; [unrolled: 1-line block ×3, first 2 shown]
	v_fma_f16 v77, v59, s7, v76
	v_fma_f16 v76, v59, s15, v76
	;; [unrolled: 1-line block ×4, first 2 shown]
	v_sub_f16_e32 v51, v51, v55
	v_mul_f16_e32 v55, 0x3722, v52
	v_add_f16_e32 v43, v59, v43
	v_fma_f16 v57, v51, s15, v55
	v_fma_f16 v55, v51, s7, v55
	v_mul_f16_e32 v59, 0xb8d2, v52
	v_add_f16_e32 v55, v55, v62
	v_fma_f16 v60, v51, s19, v59
	v_fma_f16 v59, v51, s11, v59
	v_mul_f16_e32 v62, 0xbbdd, v52
	v_add_f16_e32 v57, v57, v63
	v_add_f16_e32 v59, v59, v64
	v_fma_f16 v63, v51, s13, v62
	v_fma_f16 v62, v51, s21, v62
	v_mul_f16_e32 v64, 0xb461, v52
	v_add_f16_e32 v60, v60, v65
	;; [unrolled: 5-line block ×4, first 2 shown]
	v_add_f16_e32 v66, v66, v72
	v_fma_f16 v71, v51, s17, v70
	v_fma_f16 v70, v51, s9, v70
	v_mul_f16_e32 v72, 0x2de8, v52
	v_mul_f16_e32 v52, 0xbacd, v52
	v_add_f16_e32 v38, v38, v42
	v_add_f16_e32 v67, v67, v73
	;; [unrolled: 1-line block ×3, first 2 shown]
	v_fma_f16 v73, v51, s18, v72
	v_fma_f16 v72, v51, s6, v72
	;; [unrolled: 1-line block ×4, first 2 shown]
	v_sub_f16_e32 v36, v36, v41
	v_mul_f16_e32 v41, 0x2de8, v38
	v_add_f16_e32 v43, v51, v43
	v_fma_f16 v42, v36, s18, v41
	v_fma_f16 v41, v36, s6, v41
	v_mul_f16_e32 v51, 0xbbdd, v38
	v_add_f16_e32 v41, v41, v55
	v_fma_f16 v52, v36, s21, v51
	v_fma_f16 v51, v36, s13, v51
	v_mul_f16_e32 v55, 0xb461, v38
	v_add_f16_e32 v42, v42, v57
	v_add_f16_e32 v51, v51, v59
	v_fma_f16 v57, v36, s10, v55
	v_fma_f16 v55, v36, s14, v55
	v_mul_f16_e32 v59, 0x3b76, v38
	v_add_f16_e32 v52, v52, v60
	v_add_f16_e32 v55, v55, v62
	v_fma_f16 v60, v36, s9, v59
	v_fma_f16 v59, v36, s17, v59
	v_mul_f16_e32 v62, 0x3722, v38
	v_add_f16_e32 v57, v57, v63
	v_add_f16_e32 v59, v59, v64
	v_fma_f16 v63, v36, s15, v62
	v_fma_f16 v62, v36, s7, v62
	v_mul_f16_e32 v64, 0xbacd, v38
	v_add_f16_e32 v33, v33, v35
	v_add_f16_e32 v60, v60, v65
	v_add_f16_e32 v62, v62, v66
	v_fma_f16 v65, v36, s16, v64
	v_fma_f16 v64, v36, s12, v64
	v_mul_f16_e32 v66, 0xb8d2, v38
	v_mul_f16_e32 v38, 0x39e9, v38
	v_sub_f16_e32 v32, v32, v34
	v_mul_f16_e32 v34, 0xb461, v33
	v_add_f16_e32 v63, v63, v67
	v_add_f16_e32 v64, v64, v70
	v_fma_f16 v67, v36, s11, v66
	v_fma_f16 v66, v36, s19, v66
	v_fma_f16 v70, v36, s8, v38
	v_fma_f16 v36, v36, s20, v38
	v_fma_f16 v35, v32, s14, v34
	v_fma_f16 v34, v32, s10, v34
	v_mul_f16_e32 v38, 0xbacd, v33
	v_add_f16_e32 v35, v35, v42
	v_add_f16_e32 v34, v34, v41
	v_fma_f16 v41, v32, s12, v38
	v_fma_f16 v38, v32, s16, v38
	v_mul_f16_e32 v42, 0x39e9, v33
	v_add_f16_e32 v36, v36, v43
	v_add_f16_e32 v38, v38, v51
	v_fma_f16 v43, v32, s8, v42
	v_fma_f16 v42, v32, s20, v42
	v_mul_f16_e32 v51, 0x3722, v33
	v_add_f16_e32 v41, v41, v52
	v_add_f16_e32 v42, v42, v55
	v_fma_f16 v52, v32, s15, v51
	v_fma_f16 v51, v32, s7, v51
	v_mul_f16_e32 v55, 0xbbdd, v33
	v_add_f16_e32 v43, v43, v57
	v_add_f16_e32 v51, v51, v59
	v_fma_f16 v57, v32, s21, v55
	v_fma_f16 v55, v32, s13, v55
	v_mul_f16_e32 v59, 0x2de8, v33
	v_add_f16_e32 v29, v29, v31
	v_add_f16_e32 v52, v52, v60
	v_add_f16_e32 v55, v55, v62
	v_fma_f16 v60, v32, s6, v59
	v_fma_f16 v59, v32, s18, v59
	v_mul_f16_e32 v62, 0x3b76, v33
	v_mul_f16_e32 v33, 0xb8d2, v33
	v_sub_f16_e32 v28, v28, v30
	v_mul_f16_e32 v30, 0xb8d2, v29
	v_add_f16_e32 v57, v57, v63
	v_add_f16_e32 v59, v59, v64
	v_fma_f16 v63, v32, s17, v62
	v_fma_f16 v62, v32, s9, v62
	v_fma_f16 v64, v32, s19, v33
	v_fma_f16 v32, v32, s11, v33
	v_fma_f16 v31, v28, s19, v30
	v_fma_f16 v30, v28, s11, v30
	v_mul_f16_e32 v33, 0xb461, v29
	v_add_f16_e32 v31, v31, v35
	;; [unrolled: 38-line block ×4, first 2 shown]
	v_add_f16_e32 v76, v76, v80
	v_add_f16_e32 v21, v21, v26
	v_add_f16_e32 v18, v18, v25
	v_fma_f16 v25, v20, s9, v24
	v_fma_f16 v24, v20, s17, v24
	v_mul_f16_e32 v26, 0xbacd, v19
	v_add_f16_e32 v77, v77, v81
	v_add_f16_e32 v78, v78, v82
	v_add_f16_e32 v71, v71, v75
	v_add_f16_e32 v72, v72, v76
	v_add_f16_e32 v23, v23, v28
	v_add_f16_e32 v24, v24, v29
	v_fma_f16 v28, v20, s16, v26
	v_fma_f16 v26, v20, s12, v26
	v_mul_f16_e32 v29, 0x39e9, v19
	v_add_f16_e32 v73, v73, v77
	v_add_f16_e32 v74, v74, v78
	v_add_f16_e32 v65, v65, v71
	;; [unrolled: 9-line block ×4, first 2 shown]
	v_add_f16_e32 v55, v55, v62
	v_add_f16_e32 v30, v30, v34
	;; [unrolled: 1-line block ×3, first 2 shown]
	v_fma_f16 v34, v20, s7, v33
	v_fma_f16 v33, v20, s15, v33
	v_mul_f16_e32 v35, 0xb461, v19
	v_mul_f16_e32 v19, 0x2de8, v19
	v_add_f16_e32 v57, v57, v63
	v_add_f16_e32 v59, v59, v64
	;; [unrolled: 1-line block ×6, first 2 shown]
	v_fma_f16 v36, v20, s14, v35
	v_fma_f16 v35, v20, s10, v35
	;; [unrolled: 1-line block ×4, first 2 shown]
	v_add_f16_e32 v43, v43, v57
	v_add_f16_e32 v51, v51, v59
	;; [unrolled: 1-line block ×7, first 2 shown]
	s_waitcnt lgkmcnt(0)
	s_barrier
	ds_write_b16 v68, v69
	ds_write_b16 v68, v21 offset:68
	ds_write_b16 v68, v25 offset:136
	;; [unrolled: 1-line block ×16, first 2 shown]
	s_waitcnt lgkmcnt(0)
	s_barrier
	ds_read_u16 v19, v7
	ds_read_u16 v20, v1 offset:136
	ds_read_u16 v21, v1 offset:272
	;; [unrolled: 1-line block ×10, first 2 shown]
	ds_read_u16 v29, v9
	ds_read_u16 v30, v11
	;; [unrolled: 1-line block ×4, first 2 shown]
	ds_read_u16 v35, v1 offset:2108
	s_and_saveexec_b64 s[2:3], vcc
	s_cbranch_execz .LBB0_22
; %bb.21:
	ds_read_u16 v18, v17 offset:1088
	ds_read_u16 v15, v1 offset:2244
	v_mov_b32_e32 v12, v16
.LBB0_22:
	s_or_b64 exec, exec, s[2:3]
	s_and_saveexec_b64 s[2:3], s[0:1]
	s_cbranch_execz .LBB0_25
; %bb.23:
	v_mov_b32_e32 v5, 0
	v_lshl_add_u64 v[16:17], v[4:5], 2, s[4:5]
	v_mov_b32_e32 v11, v5
	v_mov_b32_e32 v9, v5
	;; [unrolled: 1-line block ×3, first 2 shown]
	global_load_dword v4, v[16:17], off offset:2244
	v_lshl_add_u64 v[10:11], v[10:11], 2, s[4:5]
	v_lshl_add_u64 v[8:9], v[8:9], 2, s[4:5]
	v_lshl_add_u64 v[6:7], v[6:7], 2, s[4:5]
	v_mov_b32_e32 v1, v5
	global_load_dword v10, v[10:11], off offset:2244
	s_mov_b32 s0, 0xe2c4a689
	global_load_dword v11, v[8:9], off offset:2244
	global_load_dword v16, v[6:7], off offset:2244
	v_lshlrev_b64 v[6:7], 2, v[0:1]
	v_lshl_add_u64 v[8:9], s[4:5], 0, v[6:7]
	global_load_dword v1, v[8:9], off offset:3060
	global_load_dword v17, v[8:9], off offset:2788
	;; [unrolled: 1-line block ×4, first 2 shown]
	v_lshl_add_u64 v[2:3], v[2:3], 0, v[6:7]
	s_waitcnt vmcnt(7)
	v_lshrrev_b32_e32 v8, 16, v4
	v_mul_f16_e32 v9, v61, v4
	s_waitcnt lgkmcnt(0)
	v_fma_f16 v9, v35, v8, v9
	v_mul_f16_e32 v8, v61, v8
	v_fma_f16 v4, v35, v4, -v8
	s_waitcnt vmcnt(6)
	v_lshrrev_b32_e32 v41, 16, v10
	v_mul_f16_e32 v42, v58, v10
	s_waitcnt vmcnt(5)
	v_lshrrev_b32_e32 v43, 16, v11
	v_mul_f16_e32 v51, v56, v11
	;; [unrolled: 3-line block ×3, first 2 shown]
	v_fma_f16 v8, v34, v41, v42
	v_mul_f16_e32 v35, v58, v41
	v_fma_f16 v41, v33, v43, v51
	v_mul_f16_e32 v42, v56, v43
	;; [unrolled: 2-line block ×3, first 2 shown]
	s_waitcnt vmcnt(3)
	v_lshrrev_b32_e32 v52, 16, v1
	v_mul_f16_e32 v54, v49, v1
	s_waitcnt vmcnt(0)
	v_lshrrev_b32_e32 v59, 16, v38
	v_sub_f16_e32 v61, v31, v4
	v_fma_f16 v4, v34, v10, -v35
	v_mul_f16_e32 v34, v49, v52
	v_lshrrev_b32_e32 v57, 16, v36
	v_mul_f16_e32 v60, v44, v38
	v_fma_f16 v16, v32, v16, -v51
	v_fma_f16 v32, v28, v52, v54
	v_mul_f16_e32 v44, v44, v59
	v_fma_f16 v1, v28, v1, -v34
	v_mul_f16_e32 v58, v45, v36
	v_sub_f16_e32 v10, v47, v41
	v_fma_f16 v11, v33, v11, -v42
	v_sub_f16_e32 v33, v48, v43
	v_mul_f16_e32 v43, v45, v57
	v_fma_f16 v45, v25, v59, v60
	v_sub_f16_e32 v16, v13, v16
	v_sub_f16_e32 v32, v40, v32
	v_fma_f16 v25, v25, v38, -v44
	v_sub_f16_e32 v1, v23, v1
	v_lshrrev_b32_e32 v55, 16, v17
	v_sub_f16_e32 v49, v30, v4
	v_fma_f16 v4, v47, 2.0, -v10
	v_fma_f16 v47, v48, 2.0, -v33
	v_sub_f16_e32 v34, v27, v45
	v_fma_f16 v13, v13, 2.0, -v16
	v_fma_f16 v23, v23, 2.0, -v1
	v_sub_f16_e32 v25, v19, v25
	v_pack_b32_f16 v1, v32, v1
	v_mul_f16_e32 v56, v46, v17
	v_mul_f16_e32 v41, v46, v55
	v_fma_f16 v42, v24, v57, v58
	v_sub_f16_e32 v11, v29, v11
	v_fma_f16 v24, v24, v36, -v43
	v_fma_f16 v27, v27, 2.0, -v34
	v_fma_f16 v19, v19, 2.0, -v25
	global_store_dword v[2:3], v1, off offset:3128
	v_pack_b32_f16 v1, v47, v13
	v_fma_f16 v35, v26, v55, v56
	v_fma_f16 v17, v26, v17, -v41
	v_sub_f16_e32 v26, v37, v42
	v_fma_f16 v29, v29, 2.0, -v11
	v_sub_f16_e32 v24, v20, v24
	v_pack_b32_f16 v6, v27, v19
	global_store_dword v[2:3], v1, off offset:1088
	v_pack_b32_f16 v1, v33, v16
	v_fma_f16 v37, v37, 2.0, -v26
	v_fma_f16 v20, v20, 2.0, -v24
	global_store_dword v[2:3], v6, off
	v_pack_b32_f16 v6, v34, v25
	global_store_dword v[2:3], v1, off offset:3400
	v_pack_b32_f16 v1, v4, v29
	v_sub_f16_e32 v28, v39, v35
	v_sub_f16_e32 v17, v21, v17
	global_store_dword v[2:3], v6, off offset:2312
	v_pack_b32_f16 v6, v37, v20
	global_store_dword v[2:3], v1, off offset:1360
	v_pack_b32_f16 v1, v10, v11
	v_fma_f16 v36, v39, 2.0, -v28
	v_fma_f16 v21, v21, 2.0, -v17
	global_store_dword v[2:3], v6, off offset:272
	v_pack_b32_f16 v6, v26, v24
	global_store_dword v[2:3], v1, off offset:3672
	v_add_u32_e32 v1, 0x198, v0
	global_store_dword v[2:3], v6, off offset:2584
	v_pack_b32_f16 v6, v36, v21
	v_mul_hi_u32 v1, v1, s0
	v_sub_f16_e32 v8, v50, v8
	v_fma_f16 v35, v40, 2.0, -v32
	global_store_dword v[2:3], v6, off offset:544
	v_pack_b32_f16 v6, v28, v17
	v_lshrrev_b32_e32 v1, 9, v1
	v_add_u32_e32 v0, 0x1dc, v0
	v_fma_f16 v46, v50, 2.0, -v8
	v_fma_f16 v30, v30, 2.0, -v49
	global_store_dword v[2:3], v6, off offset:2856
	v_pack_b32_f16 v6, v35, v23
	v_mul_u32_u24_e32 v4, 0x242, v1
	v_mul_hi_u32 v0, v0, s0
	v_sub_f16_e32 v9, v53, v9
	global_store_dword v[2:3], v6, off offset:816
	v_lshl_add_u64 v[6:7], v[4:5], 2, v[2:3]
	v_pack_b32_f16 v1, v46, v30
	v_lshrrev_b32_e32 v0, 9, v0
	v_fma_f16 v53, v53, 2.0, -v9
	v_fma_f16 v31, v31, 2.0, -v61
	global_store_dword v[6:7], v1, off offset:1632
	v_pack_b32_f16 v1, v8, v49
	v_mul_u32_u24_e32 v4, 0x242, v0
	global_store_dword v[6:7], v1, off offset:3944
	v_lshl_add_u64 v[0:1], v[4:5], 2, v[2:3]
	s_mov_b64 s[0:1], 0x770
	v_pack_b32_f16 v4, v53, v31
	v_lshl_add_u64 v[6:7], v[0:1], 0, s[0:1]
	global_store_dword v[0:1], v4, off offset:1904
	v_pack_b32_f16 v0, v9, v61
	global_store_dword v[6:7], v0, off offset:2312
	s_and_b64 exec, exec, vcc
	s_cbranch_execz .LBB0_25
; %bb.24:
	v_mov_b32_e32 v13, v5
	v_lshl_add_u64 v[0:1], v[12:13], 2, s[4:5]
	global_load_dword v4, v[0:1], off offset:2244
	v_add_co_u32_e32 v0, vcc, 0x1000, v2
	s_waitcnt vmcnt(0)
	v_mul_f16_sdwa v5, v15, v4 dst_sel:DWORD dst_unused:UNUSED_PAD src0_sel:DWORD src1_sel:WORD_1
	v_mul_f16_sdwa v6, v14, v4 dst_sel:DWORD dst_unused:UNUSED_PAD src0_sel:DWORD src1_sel:WORD_1
	v_fma_f16 v5, v14, v4, v5
	v_fma_f16 v4, v15, v4, -v6
	v_sub_f16_e32 v5, v22, v5
	v_sub_f16_e32 v4, v18, v4
	v_fma_f16 v6, v22, 2.0, -v5
	v_fma_f16 v7, v18, 2.0, -v4
	v_pack_b32_f16 v4, v5, v4
	v_pack_b32_f16 v5, v6, v7
	v_addc_co_u32_e32 v1, vcc, 0, v3, vcc
	global_store_dword v[2:3], v5, off offset:2176
	global_store_dword v[0:1], v4, off offset:392
.LBB0_25:
	s_endpgm
	.section	.rodata,"a",@progbits
	.p2align	6, 0x0
	.amdhsa_kernel fft_rtc_back_len1156_factors_17_2_17_2_wgs_204_tpt_68_halfLds_half_ip_CI_unitstride_sbrr_dirReg
		.amdhsa_group_segment_fixed_size 0
		.amdhsa_private_segment_fixed_size 0
		.amdhsa_kernarg_size 88
		.amdhsa_user_sgpr_count 2
		.amdhsa_user_sgpr_dispatch_ptr 0
		.amdhsa_user_sgpr_queue_ptr 0
		.amdhsa_user_sgpr_kernarg_segment_ptr 1
		.amdhsa_user_sgpr_dispatch_id 0
		.amdhsa_user_sgpr_kernarg_preload_length 0
		.amdhsa_user_sgpr_kernarg_preload_offset 0
		.amdhsa_user_sgpr_private_segment_size 0
		.amdhsa_uses_dynamic_stack 0
		.amdhsa_enable_private_segment 0
		.amdhsa_system_sgpr_workgroup_id_x 1
		.amdhsa_system_sgpr_workgroup_id_y 0
		.amdhsa_system_sgpr_workgroup_id_z 0
		.amdhsa_system_sgpr_workgroup_info 0
		.amdhsa_system_vgpr_workitem_id 0
		.amdhsa_next_free_vgpr 104
		.amdhsa_next_free_sgpr 72
		.amdhsa_accum_offset 104
		.amdhsa_reserve_vcc 1
		.amdhsa_float_round_mode_32 0
		.amdhsa_float_round_mode_16_64 0
		.amdhsa_float_denorm_mode_32 3
		.amdhsa_float_denorm_mode_16_64 3
		.amdhsa_dx10_clamp 1
		.amdhsa_ieee_mode 1
		.amdhsa_fp16_overflow 0
		.amdhsa_tg_split 0
		.amdhsa_exception_fp_ieee_invalid_op 0
		.amdhsa_exception_fp_denorm_src 0
		.amdhsa_exception_fp_ieee_div_zero 0
		.amdhsa_exception_fp_ieee_overflow 0
		.amdhsa_exception_fp_ieee_underflow 0
		.amdhsa_exception_fp_ieee_inexact 0
		.amdhsa_exception_int_div_zero 0
	.end_amdhsa_kernel
	.text
.Lfunc_end0:
	.size	fft_rtc_back_len1156_factors_17_2_17_2_wgs_204_tpt_68_halfLds_half_ip_CI_unitstride_sbrr_dirReg, .Lfunc_end0-fft_rtc_back_len1156_factors_17_2_17_2_wgs_204_tpt_68_halfLds_half_ip_CI_unitstride_sbrr_dirReg
                                        ; -- End function
	.section	.AMDGPU.csdata,"",@progbits
; Kernel info:
; codeLenInByte = 15720
; NumSgprs: 78
; NumVgprs: 104
; NumAgprs: 0
; TotalNumVgprs: 104
; ScratchSize: 0
; MemoryBound: 0
; FloatMode: 240
; IeeeMode: 1
; LDSByteSize: 0 bytes/workgroup (compile time only)
; SGPRBlocks: 9
; VGPRBlocks: 12
; NumSGPRsForWavesPerEU: 78
; NumVGPRsForWavesPerEU: 104
; AccumOffset: 104
; Occupancy: 4
; WaveLimiterHint : 1
; COMPUTE_PGM_RSRC2:SCRATCH_EN: 0
; COMPUTE_PGM_RSRC2:USER_SGPR: 2
; COMPUTE_PGM_RSRC2:TRAP_HANDLER: 0
; COMPUTE_PGM_RSRC2:TGID_X_EN: 1
; COMPUTE_PGM_RSRC2:TGID_Y_EN: 0
; COMPUTE_PGM_RSRC2:TGID_Z_EN: 0
; COMPUTE_PGM_RSRC2:TIDIG_COMP_CNT: 0
; COMPUTE_PGM_RSRC3_GFX90A:ACCUM_OFFSET: 25
; COMPUTE_PGM_RSRC3_GFX90A:TG_SPLIT: 0
	.text
	.p2alignl 6, 3212836864
	.fill 256, 4, 3212836864
	.type	__hip_cuid_79701155e5da3e4e,@object ; @__hip_cuid_79701155e5da3e4e
	.section	.bss,"aw",@nobits
	.globl	__hip_cuid_79701155e5da3e4e
__hip_cuid_79701155e5da3e4e:
	.byte	0                               ; 0x0
	.size	__hip_cuid_79701155e5da3e4e, 1

	.ident	"AMD clang version 19.0.0git (https://github.com/RadeonOpenCompute/llvm-project roc-6.4.0 25133 c7fe45cf4b819c5991fe208aaa96edf142730f1d)"
	.section	".note.GNU-stack","",@progbits
	.addrsig
	.addrsig_sym __hip_cuid_79701155e5da3e4e
	.amdgpu_metadata
---
amdhsa.kernels:
  - .agpr_count:     0
    .args:
      - .actual_access:  read_only
        .address_space:  global
        .offset:         0
        .size:           8
        .value_kind:     global_buffer
      - .offset:         8
        .size:           8
        .value_kind:     by_value
      - .actual_access:  read_only
        .address_space:  global
        .offset:         16
        .size:           8
        .value_kind:     global_buffer
      - .actual_access:  read_only
        .address_space:  global
        .offset:         24
        .size:           8
        .value_kind:     global_buffer
      - .offset:         32
        .size:           8
        .value_kind:     by_value
      - .actual_access:  read_only
        .address_space:  global
        .offset:         40
        .size:           8
        .value_kind:     global_buffer
      - .actual_access:  read_only
        .address_space:  global
        .offset:         48
        .size:           8
        .value_kind:     global_buffer
      - .offset:         56
        .size:           4
        .value_kind:     by_value
      - .actual_access:  read_only
        .address_space:  global
        .offset:         64
        .size:           8
        .value_kind:     global_buffer
      - .actual_access:  read_only
        .address_space:  global
        .offset:         72
        .size:           8
        .value_kind:     global_buffer
      - .address_space:  global
        .offset:         80
        .size:           8
        .value_kind:     global_buffer
    .group_segment_fixed_size: 0
    .kernarg_segment_align: 8
    .kernarg_segment_size: 88
    .language:       OpenCL C
    .language_version:
      - 2
      - 0
    .max_flat_workgroup_size: 204
    .name:           fft_rtc_back_len1156_factors_17_2_17_2_wgs_204_tpt_68_halfLds_half_ip_CI_unitstride_sbrr_dirReg
    .private_segment_fixed_size: 0
    .sgpr_count:     78
    .sgpr_spill_count: 0
    .symbol:         fft_rtc_back_len1156_factors_17_2_17_2_wgs_204_tpt_68_halfLds_half_ip_CI_unitstride_sbrr_dirReg.kd
    .uniform_work_group_size: 1
    .uses_dynamic_stack: false
    .vgpr_count:     104
    .vgpr_spill_count: 0
    .wavefront_size: 64
amdhsa.target:   amdgcn-amd-amdhsa--gfx950
amdhsa.version:
  - 1
  - 2
...

	.end_amdgpu_metadata
